;; amdgpu-corpus repo=ROCm/rocFFT kind=compiled arch=gfx1030 opt=O3
	.text
	.amdgcn_target "amdgcn-amd-amdhsa--gfx1030"
	.amdhsa_code_object_version 6
	.protected	fft_rtc_back_len3000_factors_10_3_10_10_wgs_100_tpt_100_halfLds_half_op_CI_CI_sbrr_dirReg ; -- Begin function fft_rtc_back_len3000_factors_10_3_10_10_wgs_100_tpt_100_halfLds_half_op_CI_CI_sbrr_dirReg
	.globl	fft_rtc_back_len3000_factors_10_3_10_10_wgs_100_tpt_100_halfLds_half_op_CI_CI_sbrr_dirReg
	.p2align	8
	.type	fft_rtc_back_len3000_factors_10_3_10_10_wgs_100_tpt_100_halfLds_half_op_CI_CI_sbrr_dirReg,@function
fft_rtc_back_len3000_factors_10_3_10_10_wgs_100_tpt_100_halfLds_half_op_CI_CI_sbrr_dirReg: ; @fft_rtc_back_len3000_factors_10_3_10_10_wgs_100_tpt_100_halfLds_half_op_CI_CI_sbrr_dirReg
; %bb.0:
	s_clause 0x2
	s_load_dwordx4 s[16:19], s[4:5], 0x18
	s_load_dwordx4 s[12:15], s[4:5], 0x0
	;; [unrolled: 1-line block ×3, first 2 shown]
	v_mul_u32_u24_e32 v1, 0x290, v0
	v_mov_b32_e32 v3, 0
	s_waitcnt lgkmcnt(0)
	s_load_dwordx2 s[20:21], s[16:17], 0x0
	s_load_dwordx2 s[2:3], s[18:19], 0x0
	v_cmp_lt_u64_e64 s0, s[14:15], 2
	v_add_nc_u32_sdwa v5, s6, v1 dst_sel:DWORD dst_unused:UNUSED_PAD src0_sel:DWORD src1_sel:WORD_1
	v_mov_b32_e32 v1, 0
	v_mov_b32_e32 v6, v3
	;; [unrolled: 1-line block ×3, first 2 shown]
	s_and_b32 vcc_lo, exec_lo, s0
	s_cbranch_vccnz .LBB0_8
; %bb.1:
	s_load_dwordx2 s[0:1], s[4:5], 0x10
	v_mov_b32_e32 v1, 0
	v_mov_b32_e32 v2, 0
	s_add_u32 s6, s18, 8
	s_addc_u32 s7, s19, 0
	s_add_u32 s22, s16, 8
	s_addc_u32 s23, s17, 0
	v_mov_b32_e32 v9, v2
	v_mov_b32_e32 v8, v1
	s_mov_b64 s[26:27], 1
	s_waitcnt lgkmcnt(0)
	s_add_u32 s24, s0, 8
	s_addc_u32 s25, s1, 0
.LBB0_2:                                ; =>This Inner Loop Header: Depth=1
	s_load_dwordx2 s[28:29], s[24:25], 0x0
                                        ; implicit-def: $vgpr10_vgpr11
	s_mov_b32 s0, exec_lo
	s_waitcnt lgkmcnt(0)
	v_or_b32_e32 v4, s29, v6
	v_cmpx_ne_u64_e32 0, v[3:4]
	s_xor_b32 s1, exec_lo, s0
	s_cbranch_execz .LBB0_4
; %bb.3:                                ;   in Loop: Header=BB0_2 Depth=1
	v_cvt_f32_u32_e32 v4, s28
	v_cvt_f32_u32_e32 v7, s29
	s_sub_u32 s0, 0, s28
	s_subb_u32 s30, 0, s29
	v_fmac_f32_e32 v4, 0x4f800000, v7
	v_rcp_f32_e32 v4, v4
	v_mul_f32_e32 v4, 0x5f7ffffc, v4
	v_mul_f32_e32 v7, 0x2f800000, v4
	v_trunc_f32_e32 v7, v7
	v_fmac_f32_e32 v4, 0xcf800000, v7
	v_cvt_u32_f32_e32 v7, v7
	v_cvt_u32_f32_e32 v4, v4
	v_mul_lo_u32 v10, s0, v7
	v_mul_hi_u32 v11, s0, v4
	v_mul_lo_u32 v12, s30, v4
	v_add_nc_u32_e32 v10, v11, v10
	v_mul_lo_u32 v11, s0, v4
	v_add_nc_u32_e32 v10, v10, v12
	v_mul_hi_u32 v12, v4, v11
	v_mul_lo_u32 v13, v4, v10
	v_mul_hi_u32 v14, v4, v10
	v_mul_hi_u32 v15, v7, v11
	v_mul_lo_u32 v11, v7, v11
	v_mul_hi_u32 v16, v7, v10
	v_mul_lo_u32 v10, v7, v10
	v_add_co_u32 v12, vcc_lo, v12, v13
	v_add_co_ci_u32_e32 v13, vcc_lo, 0, v14, vcc_lo
	v_add_co_u32 v11, vcc_lo, v12, v11
	v_add_co_ci_u32_e32 v11, vcc_lo, v13, v15, vcc_lo
	v_add_co_ci_u32_e32 v12, vcc_lo, 0, v16, vcc_lo
	v_add_co_u32 v10, vcc_lo, v11, v10
	v_add_co_ci_u32_e32 v11, vcc_lo, 0, v12, vcc_lo
	v_add_co_u32 v4, vcc_lo, v4, v10
	v_add_co_ci_u32_e32 v7, vcc_lo, v7, v11, vcc_lo
	v_mul_hi_u32 v10, s0, v4
	v_mul_lo_u32 v12, s30, v4
	v_mul_lo_u32 v11, s0, v7
	v_add_nc_u32_e32 v10, v10, v11
	v_mul_lo_u32 v11, s0, v4
	v_add_nc_u32_e32 v10, v10, v12
	v_mul_hi_u32 v12, v4, v11
	v_mul_lo_u32 v13, v4, v10
	v_mul_hi_u32 v14, v4, v10
	v_mul_hi_u32 v15, v7, v11
	v_mul_lo_u32 v11, v7, v11
	v_mul_hi_u32 v16, v7, v10
	v_mul_lo_u32 v10, v7, v10
	v_add_co_u32 v12, vcc_lo, v12, v13
	v_add_co_ci_u32_e32 v13, vcc_lo, 0, v14, vcc_lo
	v_add_co_u32 v11, vcc_lo, v12, v11
	v_add_co_ci_u32_e32 v11, vcc_lo, v13, v15, vcc_lo
	v_add_co_ci_u32_e32 v12, vcc_lo, 0, v16, vcc_lo
	v_add_co_u32 v10, vcc_lo, v11, v10
	v_add_co_ci_u32_e32 v11, vcc_lo, 0, v12, vcc_lo
	v_add_co_u32 v4, vcc_lo, v4, v10
	v_add_co_ci_u32_e32 v7, vcc_lo, v7, v11, vcc_lo
	v_mul_hi_u32 v16, v5, v4
	v_mad_u64_u32 v[12:13], null, v6, v4, 0
	v_mad_u64_u32 v[10:11], null, v5, v7, 0
	v_mad_u64_u32 v[14:15], null, v6, v7, 0
	v_add_co_u32 v4, vcc_lo, v16, v10
	v_add_co_ci_u32_e32 v7, vcc_lo, 0, v11, vcc_lo
	v_add_co_u32 v4, vcc_lo, v4, v12
	v_add_co_ci_u32_e32 v4, vcc_lo, v7, v13, vcc_lo
	v_add_co_ci_u32_e32 v7, vcc_lo, 0, v15, vcc_lo
	v_add_co_u32 v4, vcc_lo, v4, v14
	v_add_co_ci_u32_e32 v7, vcc_lo, 0, v7, vcc_lo
	v_mul_lo_u32 v12, s29, v4
	v_mad_u64_u32 v[10:11], null, s28, v4, 0
	v_mul_lo_u32 v13, s28, v7
	v_sub_co_u32 v10, vcc_lo, v5, v10
	v_add3_u32 v11, v11, v13, v12
	v_sub_nc_u32_e32 v12, v6, v11
	v_subrev_co_ci_u32_e64 v12, s0, s29, v12, vcc_lo
	v_add_co_u32 v13, s0, v4, 2
	v_add_co_ci_u32_e64 v14, s0, 0, v7, s0
	v_sub_co_u32 v15, s0, v10, s28
	v_sub_co_ci_u32_e32 v11, vcc_lo, v6, v11, vcc_lo
	v_subrev_co_ci_u32_e64 v12, s0, 0, v12, s0
	v_cmp_le_u32_e32 vcc_lo, s28, v15
	v_cmp_eq_u32_e64 s0, s29, v11
	v_cndmask_b32_e64 v15, 0, -1, vcc_lo
	v_cmp_le_u32_e32 vcc_lo, s29, v12
	v_cndmask_b32_e64 v16, 0, -1, vcc_lo
	v_cmp_le_u32_e32 vcc_lo, s28, v10
	;; [unrolled: 2-line block ×3, first 2 shown]
	v_cndmask_b32_e64 v17, 0, -1, vcc_lo
	v_cmp_eq_u32_e32 vcc_lo, s29, v12
	v_cndmask_b32_e64 v10, v17, v10, s0
	v_cndmask_b32_e32 v12, v16, v15, vcc_lo
	v_add_co_u32 v15, vcc_lo, v4, 1
	v_add_co_ci_u32_e32 v16, vcc_lo, 0, v7, vcc_lo
	v_cmp_ne_u32_e32 vcc_lo, 0, v12
	v_cndmask_b32_e32 v11, v16, v14, vcc_lo
	v_cndmask_b32_e32 v12, v15, v13, vcc_lo
	v_cmp_ne_u32_e32 vcc_lo, 0, v10
	v_cndmask_b32_e32 v11, v7, v11, vcc_lo
	v_cndmask_b32_e32 v10, v4, v12, vcc_lo
.LBB0_4:                                ;   in Loop: Header=BB0_2 Depth=1
	s_andn2_saveexec_b32 s0, s1
	s_cbranch_execz .LBB0_6
; %bb.5:                                ;   in Loop: Header=BB0_2 Depth=1
	v_cvt_f32_u32_e32 v4, s28
	s_sub_i32 s1, 0, s28
	v_rcp_iflag_f32_e32 v4, v4
	v_mul_f32_e32 v4, 0x4f7ffffe, v4
	v_cvt_u32_f32_e32 v4, v4
	v_mul_lo_u32 v7, s1, v4
	v_mul_hi_u32 v7, v4, v7
	v_add_nc_u32_e32 v4, v4, v7
	v_mul_hi_u32 v4, v5, v4
	v_mul_lo_u32 v7, v4, s28
	v_add_nc_u32_e32 v10, 1, v4
	v_sub_nc_u32_e32 v7, v5, v7
	v_subrev_nc_u32_e32 v11, s28, v7
	v_cmp_le_u32_e32 vcc_lo, s28, v7
	v_cndmask_b32_e32 v7, v7, v11, vcc_lo
	v_cndmask_b32_e32 v4, v4, v10, vcc_lo
	v_mov_b32_e32 v11, v3
	v_cmp_le_u32_e32 vcc_lo, s28, v7
	v_add_nc_u32_e32 v10, 1, v4
	v_cndmask_b32_e32 v10, v4, v10, vcc_lo
.LBB0_6:                                ;   in Loop: Header=BB0_2 Depth=1
	s_or_b32 exec_lo, exec_lo, s0
	v_mul_lo_u32 v4, v11, s28
	v_mul_lo_u32 v7, v10, s29
	s_load_dwordx2 s[0:1], s[22:23], 0x0
	v_mad_u64_u32 v[12:13], null, v10, s28, 0
	s_load_dwordx2 s[28:29], s[6:7], 0x0
	s_add_u32 s26, s26, 1
	s_addc_u32 s27, s27, 0
	s_add_u32 s6, s6, 8
	s_addc_u32 s7, s7, 0
	s_add_u32 s22, s22, 8
	v_add3_u32 v4, v13, v7, v4
	v_sub_co_u32 v5, vcc_lo, v5, v12
	s_addc_u32 s23, s23, 0
	s_add_u32 s24, s24, 8
	v_sub_co_ci_u32_e32 v4, vcc_lo, v6, v4, vcc_lo
	s_addc_u32 s25, s25, 0
	s_waitcnt lgkmcnt(0)
	v_mul_lo_u32 v6, s0, v4
	v_mul_lo_u32 v7, s1, v5
	v_mad_u64_u32 v[1:2], null, s0, v5, v[1:2]
	v_mul_lo_u32 v4, s28, v4
	v_mul_lo_u32 v12, s29, v5
	v_mad_u64_u32 v[8:9], null, s28, v5, v[8:9]
	v_cmp_ge_u64_e64 s0, s[26:27], s[14:15]
	v_add3_u32 v2, v7, v2, v6
	v_add3_u32 v9, v12, v9, v4
	s_and_b32 vcc_lo, exec_lo, s0
	s_cbranch_vccnz .LBB0_9
; %bb.7:                                ;   in Loop: Header=BB0_2 Depth=1
	v_mov_b32_e32 v5, v10
	v_mov_b32_e32 v6, v11
	s_branch .LBB0_2
.LBB0_8:
	v_mov_b32_e32 v9, v2
	v_mov_b32_e32 v11, v6
	;; [unrolled: 1-line block ×4, first 2 shown]
.LBB0_9:
	s_load_dwordx2 s[0:1], s[4:5], 0x28
	v_mul_hi_u32 v77, 0x28f5c29, v0
	s_lshl_b64 s[6:7], s[14:15], 3
                                        ; implicit-def: $vgpr12
                                        ; implicit-def: $vgpr13
                                        ; implicit-def: $vgpr14
                                        ; implicit-def: $vgpr5
                                        ; implicit-def: $vgpr7
                                        ; implicit-def: $vgpr22
                                        ; implicit-def: $vgpr4
                                        ; implicit-def: $vgpr6
                                        ; implicit-def: $vgpr21
                                        ; implicit-def: $vgpr3
	s_add_u32 s4, s18, s6
	s_addc_u32 s5, s19, s7
	s_waitcnt lgkmcnt(0)
	v_cmp_gt_u64_e32 vcc_lo, s[0:1], v[10:11]
	v_cmp_le_u64_e64 s0, s[0:1], v[10:11]
	s_and_saveexec_b32 s1, s0
	s_xor_b32 s0, exec_lo, s1
; %bb.10:
	v_mul_u32_u24_e32 v1, 0x64, v77
                                        ; implicit-def: $vgpr77
	v_sub_nc_u32_e32 v12, v0, v1
                                        ; implicit-def: $vgpr0
                                        ; implicit-def: $vgpr1_vgpr2
	v_add_nc_u32_e32 v13, 0x64, v12
	v_add_nc_u32_e32 v14, 0xc8, v12
	;; [unrolled: 1-line block ×9, first 2 shown]
; %bb.11:
	s_or_saveexec_b32 s1, s0
                                        ; implicit-def: $vgpr29
                                        ; implicit-def: $vgpr54
                                        ; implicit-def: $vgpr38
                                        ; implicit-def: $vgpr32
                                        ; implicit-def: $vgpr34
                                        ; implicit-def: $vgpr52
                                        ; implicit-def: $vgpr39
                                        ; implicit-def: $vgpr30
                                        ; implicit-def: $vgpr37
                                        ; implicit-def: $vgpr53
                                        ; implicit-def: $vgpr40
                                        ; implicit-def: $vgpr31
                                        ; implicit-def: $vgpr55
                                        ; implicit-def: $vgpr19
                                        ; implicit-def: $vgpr41
                                        ; implicit-def: $vgpr27
                                        ; implicit-def: $vgpr33
                                        ; implicit-def: $vgpr26
                                        ; implicit-def: $vgpr28
                                        ; implicit-def: $vgpr16
                                        ; implicit-def: $vgpr43
                                        ; implicit-def: $vgpr58
                                        ; implicit-def: $vgpr47
                                        ; implicit-def: $vgpr36
                                        ; implicit-def: $vgpr45
                                        ; implicit-def: $vgpr56
                                        ; implicit-def: $vgpr48
                                        ; implicit-def: $vgpr35
                                        ; implicit-def: $vgpr46
                                        ; implicit-def: $vgpr18
                                        ; implicit-def: $vgpr49
                                        ; implicit-def: $vgpr24
                                        ; implicit-def: $vgpr59
                                        ; implicit-def: $vgpr20
                                        ; implicit-def: $vgpr50
                                        ; implicit-def: $vgpr25
                                        ; implicit-def: $vgpr44
                                        ; implicit-def: $vgpr23
                                        ; implicit-def: $vgpr42
                                        ; implicit-def: $vgpr15
                                        ; implicit-def: $vgpr72
                                        ; implicit-def: $vgpr66
                                        ; implicit-def: $vgpr68
                                        ; implicit-def: $vgpr67
                                        ; implicit-def: $vgpr73
                                        ; implicit-def: $vgpr61
                                        ; implicit-def: $vgpr69
                                        ; implicit-def: $vgpr62
                                        ; implicit-def: $vgpr74
                                        ; implicit-def: $vgpr63
                                        ; implicit-def: $vgpr70
                                        ; implicit-def: $vgpr64
                                        ; implicit-def: $vgpr75
                                        ; implicit-def: $vgpr65
                                        ; implicit-def: $vgpr76
                                        ; implicit-def: $vgpr57
                                        ; implicit-def: $vgpr71
                                        ; implicit-def: $vgpr60
                                        ; implicit-def: $vgpr51
                                        ; implicit-def: $vgpr17
	s_xor_b32 exec_lo, exec_lo, s1
	s_cbranch_execz .LBB0_13
; %bb.12:
	s_add_u32 s6, s16, s6
	s_addc_u32 s7, s17, s7
	v_mul_u32_u24_e32 v3, 0x64, v77
	s_load_dwordx2 s[6:7], s[6:7], 0x0
	v_sub_nc_u32_e32 v12, v0, v3
	v_lshlrev_b64 v[0:1], 2, v[1:2]
	v_mad_u64_u32 v[6:7], null, s20, v12, 0
	v_add_nc_u32_e32 v5, 0x12c, v12
	v_add_nc_u32_e32 v4, 0x258, v12
	;; [unrolled: 1-line block ×5, first 2 shown]
	v_mad_u64_u32 v[13:14], null, s20, v5, 0
	v_mov_b32_e32 v2, v7
	v_mad_u64_u32 v[15:16], null, s20, v4, 0
	s_waitcnt lgkmcnt(0)
	v_mul_lo_u32 v7, s7, v10
	v_mul_lo_u32 v22, s6, v11
	v_mad_u64_u32 v[17:18], null, s6, v10, 0
	v_mad_u64_u32 v[19:20], null, s21, v12, v[2:3]
	v_mov_b32_e32 v2, v14
	v_mov_b32_e32 v14, v16
	v_mad_u64_u32 v[20:21], null, s20, v3, 0
	v_add3_u32 v18, v18, v22, v7
	v_mad_u64_u32 v[22:23], null, s21, v5, v[2:3]
	v_mov_b32_e32 v7, v19
	v_mad_u64_u32 v[23:24], null, s20, v25, 0
	v_lshlrev_b64 v[16:17], 2, v[17:18]
	v_mad_u64_u32 v[18:19], null, s21, v4, v[14:15]
	v_mov_b32_e32 v14, v22
	v_lshlrev_b64 v[6:7], 2, v[6:7]
	v_mov_b32_e32 v2, v21
	v_add_co_u32 v19, s0, s8, v16
	v_add_co_ci_u32_e64 v17, s0, s9, v17, s0
	v_lshlrev_b64 v[13:14], 2, v[13:14]
	v_add_co_u32 v0, s0, v19, v0
	v_add_co_ci_u32_e64 v1, s0, v17, v1, s0
	v_mov_b32_e32 v16, v18
	v_add_co_u32 v6, s0, v0, v6
	v_add_nc_u32_e32 v22, 0x5dc, v12
	v_add_co_ci_u32_e64 v7, s0, v1, v7, s0
	v_mad_u64_u32 v[17:18], null, s21, v3, v[2:3]
	v_add_co_u32 v18, s0, v0, v13
	v_add_co_ci_u32_e64 v19, s0, v1, v14, s0
	v_lshlrev_b64 v[13:14], 2, v[15:16]
	v_mad_u64_u32 v[15:16], null, s20, v22, 0
	v_mov_b32_e32 v2, v24
	v_mov_b32_e32 v21, v17
	v_add_nc_u32_e32 v38, 0x76c, v12
	v_add_nc_u32_e32 v41, 0x9c4, v12
	;; [unrolled: 1-line block ×3, first 2 shown]
	v_mad_u64_u32 v[24:25], null, s21, v25, v[2:3]
	v_mov_b32_e32 v2, v16
	v_add_co_u32 v25, s0, v0, v13
	v_add_co_ci_u32_e64 v26, s0, v1, v14, s0
	v_lshlrev_b64 v[13:14], 2, v[20:21]
	v_mad_u64_u32 v[16:17], null, s21, v22, v[2:3]
	v_mad_u64_u32 v[20:21], null, s20, v29, 0
	v_add_nc_u32_e32 v17, 0x834, v12
	v_add_co_u32 v27, s0, v0, v13
	v_add_co_ci_u32_e64 v28, s0, v1, v14, s0
	v_lshlrev_b64 v[13:14], 2, v[23:24]
	v_mad_u64_u32 v[22:23], null, s20, v17, 0
	v_mov_b32_e32 v2, v21
	v_add_nc_u32_e32 v24, 0x960, v12
	v_mad_u64_u32 v[52:53], null, s20, v54, 0
	v_mad_u64_u32 v[29:30], null, s21, v29, v[2:3]
	v_mov_b32_e32 v2, v23
	v_add_co_u32 v30, s0, v0, v13
	v_add_co_ci_u32_e64 v31, s0, v1, v14, s0
	v_lshlrev_b64 v[13:14], 2, v[15:16]
	v_mad_u64_u32 v[15:16], null, s21, v17, v[2:3]
	v_mad_u64_u32 v[32:33], null, s20, v24, 0
	v_add_nc_u32_e32 v17, 0xa8c, v12
	v_mov_b32_e32 v21, v29
	v_add_co_u32 v34, s0, v0, v13
	v_mov_b32_e32 v23, v15
	v_mad_u64_u32 v[15:16], null, s20, v17, 0
	v_add_co_ci_u32_e64 v35, s0, v1, v14, s0
	v_lshlrev_b64 v[13:14], 2, v[20:21]
	v_mov_b32_e32 v2, v33
	v_lshlrev_b64 v[20:21], 2, v[22:23]
	v_mad_u64_u32 v[22:23], null, s21, v24, v[2:3]
	v_mov_b32_e32 v2, v16
	v_add_co_u32 v23, s0, v0, v13
	v_add_co_ci_u32_e64 v24, s0, v1, v14, s0
	v_add_co_u32 v20, s0, v0, v20
	v_mad_u64_u32 v[16:17], null, s21, v17, v[2:3]
	v_add_co_ci_u32_e64 v21, s0, v1, v21, s0
	s_clause 0x7
	global_load_dword v17, v[6:7], off
	global_load_dword v60, v[18:19], off
	;; [unrolled: 1-line block ×8, first 2 shown]
	v_add_nc_u32_e32 v13, 0x64, v12
	v_add_nc_u32_e32 v7, 0x190, v12
	v_mov_b32_e32 v33, v22
	v_add_nc_u32_e32 v6, 0x2bc, v12
	v_lshlrev_b64 v[14:15], 2, v[15:16]
	v_mad_u64_u32 v[36:37], null, s20, v13, 0
	v_mad_u64_u32 v[20:21], null, s20, v7, 0
	v_lshlrev_b64 v[18:19], 2, v[32:33]
	v_add_nc_u32_e32 v16, 0x3e8, v12
	v_mov_b32_e32 v2, v37
	v_add_co_u32 v18, s0, v0, v18
	v_mad_u64_u32 v[27:28], null, s20, v16, 0
	v_mad_u64_u32 v[22:23], null, s21, v13, v[2:3]
	v_mov_b32_e32 v2, v21
	v_add_co_ci_u32_e64 v19, s0, v1, v19, s0
	v_add_co_u32 v14, s0, v0, v14
	v_mad_u64_u32 v[24:25], null, s21, v7, v[2:3]
	v_mov_b32_e32 v37, v22
	v_mad_u64_u32 v[22:23], null, s20, v6, 0
	v_add_co_ci_u32_e64 v15, s0, v1, v15, s0
	v_lshlrev_b64 v[25:26], 2, v[36:37]
	v_mov_b32_e32 v21, v24
	v_mov_b32_e32 v2, v23
	v_lshlrev_b64 v[20:21], 2, v[20:21]
	v_mad_u64_u32 v[23:24], null, s21, v6, v[2:3]
	v_add_co_u32 v24, s0, v0, v25
	v_add_co_ci_u32_e64 v25, s0, v1, v26, s0
	v_add_nc_u32_e32 v26, 0x514, v12
	v_mov_b32_e32 v2, v28
	v_lshlrev_b64 v[22:23], 2, v[22:23]
	v_add_co_u32 v20, s0, v0, v20
	v_mad_u64_u32 v[29:30], null, s20, v26, 0
	v_mad_u64_u32 v[31:32], null, s21, v16, v[2:3]
	v_add_nc_u32_e32 v16, 0x640, v12
	v_add_co_ci_u32_e64 v21, s0, v1, v21, s0
	v_add_co_u32 v34, s0, v0, v22
	v_mad_u64_u32 v[32:33], null, s20, v16, 0
	v_mov_b32_e32 v2, v30
	v_mov_b32_e32 v28, v31
	v_add_co_ci_u32_e64 v35, s0, v1, v23, s0
	v_mad_u64_u32 v[30:31], null, s21, v26, v[2:3]
	v_mov_b32_e32 v2, v33
	v_lshlrev_b64 v[22:23], 2, v[27:28]
	v_mad_u64_u32 v[26:27], null, s21, v16, v[2:3]
	v_mad_u64_u32 v[27:28], null, s20, v38, 0
	v_add_nc_u32_e32 v16, 0x898, v12
	v_add_co_u32 v36, s0, v0, v22
	v_add_co_ci_u32_e64 v37, s0, v1, v23, s0
	v_mov_b32_e32 v33, v26
	v_lshlrev_b64 v[22:23], 2, v[29:30]
	v_mov_b32_e32 v2, v28
	v_mad_u64_u32 v[29:30], null, s20, v16, 0
	v_lshlrev_b64 v[31:32], 2, v[32:33]
	v_mad_u64_u32 v[38:39], null, s21, v38, v[2:3]
	v_add_co_u32 v39, s0, v0, v22
	v_add_co_ci_u32_e64 v40, s0, v1, v23, s0
	v_mov_b32_e32 v2, v30
	v_add_co_u32 v30, s0, v0, v31
	v_add_co_ci_u32_e64 v31, s0, v1, v32, s0
	v_mad_u64_u32 v[32:33], null, s20, v41, 0
	v_mad_u64_u32 v[22:23], null, s21, v16, v[2:3]
	v_add_nc_u32_e32 v16, 0xaf0, v12
	s_clause 0x7
	global_load_dword v67, v[18:19], off
	global_load_dword v66, v[14:15], off
	;; [unrolled: 1-line block ×8, first 2 shown]
	v_mov_b32_e32 v28, v38
	v_add_nc_u32_e32 v14, 0xc8, v12
	v_mov_b32_e32 v2, v33
	v_mad_u64_u32 v[34:35], null, s20, v16, 0
	v_mov_b32_e32 v30, v22
	v_lshlrev_b64 v[26:27], 2, v[27:28]
	v_mad_u64_u32 v[21:22], null, s21, v41, v[2:3]
	v_add_nc_u32_e32 v22, 0x1f4, v12
	v_lshlrev_b64 v[28:29], 2, v[29:30]
	v_mov_b32_e32 v2, v35
	v_mad_u64_u32 v[30:31], null, s20, v14, 0
	v_mad_u64_u32 v[36:37], null, s20, v22, 0
	v_mov_b32_e32 v33, v21
	v_mad_u64_u32 v[38:39], null, s21, v16, v[2:3]
	v_add_co_u32 v26, s0, v0, v26
	v_mov_b32_e32 v2, v31
	v_lshlrev_b64 v[31:32], 2, v[32:33]
	v_mov_b32_e32 v16, v37
	v_add_co_ci_u32_e64 v27, s0, v1, v27, s0
	v_add_co_u32 v28, s0, v0, v28
	v_mov_b32_e32 v35, v38
	v_add_nc_u32_e32 v21, 0x320, v12
	v_mad_u64_u32 v[37:38], null, s21, v14, v[2:3]
	v_add_nc_u32_e32 v19, 0x44c, v12
	v_add_co_ci_u32_e64 v29, s0, v1, v29, s0
	v_mad_u64_u32 v[41:42], null, s20, v19, 0
	s_waitcnt vmcnt(15)
	v_mad_u64_u32 v[38:39], null, s21, v22, v[16:17]
	v_add_co_u32 v39, s0, v0, v31
	v_add_co_ci_u32_e64 v40, s0, v1, v32, s0
	v_lshlrev_b64 v[32:33], 2, v[34:35]
	v_mad_u64_u32 v[34:35], null, s20, v21, 0
	v_mov_b32_e32 v16, v42
	v_mov_b32_e32 v31, v37
	;; [unrolled: 1-line block ×3, first 2 shown]
	v_add_nc_u32_e32 v38, 0x578, v12
	v_add_co_u32 v32, s0, v0, v32
	v_mov_b32_e32 v2, v35
	v_lshlrev_b64 v[30:31], 2, v[30:31]
	v_lshlrev_b64 v[36:37], 2, v[36:37]
	v_add_co_ci_u32_e64 v33, s0, v1, v33, s0
	v_mad_u64_u32 v[42:43], null, s21, v21, v[2:3]
	v_mad_u64_u32 v[43:44], null, s21, v19, v[16:17]
	;; [unrolled: 1-line block ×3, first 2 shown]
	v_add_co_u32 v30, s0, v0, v30
	v_mov_b32_e32 v35, v42
	v_add_co_ci_u32_e64 v31, s0, v1, v31, s0
	v_mov_b32_e32 v42, v43
	v_mov_b32_e32 v2, v45
	v_add_co_u32 v46, s0, v0, v36
	v_add_co_ci_u32_e64 v47, s0, v1, v37, s0
	v_lshlrev_b64 v[36:37], 2, v[41:42]
	v_mad_u64_u32 v[41:42], null, s21, v38, v[2:3]
	v_lshlrev_b64 v[34:35], 2, v[34:35]
	v_add_nc_u32_e32 v16, 0x6a4, v12
	s_waitcnt vmcnt(14)
	v_lshrrev_b32_e32 v71, 16, v60
	s_waitcnt vmcnt(13)
	v_lshrrev_b32_e32 v76, 16, v57
	;; [unrolled: 2-line block ×4, first 2 shown]
	v_mad_u64_u32 v[42:43], null, s20, v16, 0
	v_add_co_u32 v48, s0, v0, v34
	v_mov_b32_e32 v45, v41
	v_add_nc_u32_e32 v41, 0x7d0, v12
	v_add_co_ci_u32_e64 v49, s0, v1, v35, s0
	v_add_co_u32 v50, s0, v0, v36
	v_add_co_ci_u32_e64 v51, s0, v1, v37, s0
	v_mad_u64_u32 v[37:38], null, s20, v41, 0
	v_mov_b32_e32 v2, v43
	s_waitcnt vmcnt(10)
	v_lshrrev_b32_e32 v74, 16, v63
	s_waitcnt vmcnt(9)
	v_lshrrev_b32_e32 v69, 16, v62
	;; [unrolled: 2-line block ×3, first 2 shown]
	v_mad_u64_u32 v[34:35], null, s21, v16, v[2:3]
	v_mov_b32_e32 v2, v38
	s_clause 0x7
	global_load_dword v35, v[26:27], off
	global_load_dword v56, v[28:29], off
	;; [unrolled: 1-line block ×8, first 2 shown]
	v_lshlrev_b64 v[28:29], 2, v[44:45]
	v_add_nc_u32_e32 v44, 0xa28, v12
	v_add_nc_u32_e32 v45, 0xb54, v12
	v_mad_u64_u32 v[30:31], null, s21, v41, v[2:3]
	v_mov_b32_e32 v2, v53
	v_mad_u64_u32 v[31:32], null, s20, v44, 0
	v_mov_b32_e32 v43, v34
	v_mad_u64_u32 v[39:40], null, s20, v45, 0
	v_mad_u64_u32 v[33:34], null, s21, v54, v[2:3]
	v_lshlrev_b64 v[41:42], 2, v[42:43]
	v_mov_b32_e32 v2, v32
	v_mov_b32_e32 v38, v30
	v_add_co_u32 v28, s0, v0, v28
	v_add_co_ci_u32_e64 v29, s0, v1, v29, s0
	v_mov_b32_e32 v53, v33
	v_mad_u64_u32 v[32:33], null, s21, v44, v[2:3]
	v_mov_b32_e32 v2, v40
	v_lshlrev_b64 v[37:38], 2, v[37:38]
	v_add_co_u32 v33, s0, v0, v41
	v_add_co_ci_u32_e64 v34, s0, v1, v42, s0
	v_mad_u64_u32 v[40:41], null, s21, v45, v[2:3]
	v_lshlrev_b64 v[41:42], 2, v[52:53]
	v_add_co_u32 v37, s0, v0, v37
	v_lshlrev_b64 v[30:31], 2, v[31:32]
	v_add_co_ci_u32_e64 v38, s0, v1, v38, s0
	v_add_co_u32 v41, s0, v0, v41
	v_lshlrev_b64 v[39:40], 2, v[39:40]
	v_add_co_ci_u32_e64 v42, s0, v1, v42, s0
	v_add_co_u32 v43, s0, v0, v30
	v_add_co_ci_u32_e64 v44, s0, v1, v31, s0
	v_add_co_u32 v0, s0, v0, v39
	v_add_co_ci_u32_e64 v1, s0, v1, v40, s0
	s_clause 0x5
	global_load_dword v31, v[28:29], off
	global_load_dword v53, v[33:34], off
	;; [unrolled: 1-line block ×6, first 2 shown]
	v_lshrrev_b32_e32 v51, 16, v17
	s_waitcnt vmcnt(21)
	v_lshrrev_b32_e32 v68, 16, v67
	s_waitcnt vmcnt(20)
	;; [unrolled: 2-line block ×22, first 2 shown]
	v_lshrrev_b32_e32 v29, 16, v54
.LBB0_13:
	s_or_b32 exec_lo, exec_lo, s1
	v_add_f16_e32 v0, v62, v64
	v_add_f16_e32 v77, v67, v57
	v_sub_f16_e32 v1, v57, v64
	v_sub_f16_e32 v2, v67, v62
	v_add_f16_e32 v79, v57, v17
	v_fma_f16 v0, -0.5, v0, v17
	v_sub_f16_e32 v80, v64, v57
	v_sub_f16_e32 v81, v62, v67
	;; [unrolled: 1-line block ×3, first 2 shown]
	v_fmac_f16_e32 v17, -0.5, v77
	v_sub_f16_e32 v78, v76, v68
	v_add_f16_e32 v2, v2, v1
	v_add_f16_e32 v77, v81, v80
	;; [unrolled: 1-line block ×3, first 2 shown]
	v_fmamk_f16 v1, v82, 0x3b9c, v17
	v_fmac_f16_e32 v17, 0xbb9c, v82
	v_fmamk_f16 v85, v78, 0xbb9c, v0
	v_fmac_f16_e32 v0, 0x3b9c, v78
	v_add_f16_e32 v79, v64, v79
	v_fmac_f16_e32 v1, 0xb8b4, v78
	v_fmac_f16_e32 v17, 0x38b4, v78
	v_add_f16_e32 v78, v70, v80
	v_fmac_f16_e32 v85, 0xb8b4, v82
	;; [unrolled: 3-line block ×3, first 2 shown]
	v_fmac_f16_e32 v17, 0x34f2, v77
	v_add_f16_e32 v77, v69, v78
	v_add_f16_e32 v78, v69, v70
	v_fmac_f16_e32 v85, 0x34f2, v2
	v_fmac_f16_e32 v0, 0x34f2, v2
	v_add_f16_e32 v80, v67, v79
	v_sub_f16_e32 v57, v57, v67
	v_sub_f16_e32 v2, v64, v62
	;; [unrolled: 1-line block ×4, first 2 shown]
	v_add_f16_e32 v76, v68, v76
	v_add_f16_e32 v62, v68, v77
	;; [unrolled: 1-line block ×3, first 2 shown]
	v_fma_f16 v64, -0.5, v78, v51
	v_sub_f16_e32 v78, v69, v68
	v_sub_f16_e32 v79, v68, v69
	v_fmac_f16_e32 v51, -0.5, v76
	v_fma_f16 v69, -0.5, v77, v60
	v_sub_f16_e32 v76, v65, v63
	v_sub_f16_e32 v77, v66, v61
	v_add_f16_e32 v78, v78, v70
	v_add_f16_e32 v70, v66, v65
	;; [unrolled: 1-line block ×3, first 2 shown]
	v_sub_f16_e32 v79, v74, v73
	v_add_f16_e32 v76, v77, v76
	v_add_f16_e32 v77, v65, v60
	v_fmac_f16_e32 v60, -0.5, v70
	v_sub_f16_e32 v67, v75, v72
	v_sub_f16_e32 v81, v63, v65
	;; [unrolled: 1-line block ×3, first 2 shown]
	v_add_f16_e32 v77, v63, v77
	v_fmamk_f16 v84, v79, 0x3b9c, v60
	v_fmac_f16_e32 v60, 0xbb9c, v79
	v_fmamk_f16 v83, v67, 0xbb9c, v69
	v_fmac_f16_e32 v69, 0x3b9c, v67
	;; [unrolled: 2-line block ×3, first 2 shown]
	v_fmac_f16_e32 v60, 0x38b4, v67
	v_add_f16_e32 v67, v61, v77
	v_fmac_f16_e32 v83, 0xb8b4, v79
	v_fmac_f16_e32 v69, 0x38b4, v79
	;; [unrolled: 1-line block ×3, first 2 shown]
	v_add_f16_e32 v79, v82, v81
	v_add_f16_e32 v67, v66, v67
	v_sub_f16_e32 v65, v65, v66
	v_add_f16_e32 v66, v73, v74
	v_sub_f16_e32 v61, v63, v61
	v_add_f16_e32 v63, v72, v75
	v_fmac_f16_e32 v70, 0x38b4, v57
	v_fmac_f16_e32 v51, 0xb8b4, v57
	;; [unrolled: 1-line block ×6, first 2 shown]
	v_sub_f16_e32 v76, v75, v74
	v_sub_f16_e32 v77, v72, v73
	v_fma_f16 v79, -0.5, v66, v71
	v_add_f16_e32 v66, v75, v71
	v_fmac_f16_e32 v71, -0.5, v63
	v_fmac_f16_e32 v70, 0x34f2, v78
	v_fmac_f16_e32 v51, 0x34f2, v78
	v_sub_f16_e32 v63, v74, v75
	v_sub_f16_e32 v75, v73, v72
	v_add_f16_e32 v76, v77, v76
	v_fmamk_f16 v77, v65, 0x3b9c, v79
	v_fmamk_f16 v78, v61, 0xbb9c, v71
	v_fmac_f16_e32 v71, 0x3b9c, v61
	v_add_f16_e32 v66, v74, v66
	v_add_f16_e32 v63, v75, v63
	v_fmac_f16_e32 v77, 0x38b4, v61
	v_fmac_f16_e32 v78, 0x38b4, v65
	;; [unrolled: 1-line block ×4, first 2 shown]
	v_add_f16_e32 v66, v73, v66
	v_fmac_f16_e32 v77, 0x34f2, v76
	v_fmac_f16_e32 v78, 0x34f2, v63
	;; [unrolled: 1-line block ×4, first 2 shown]
	v_add_f16_e32 v81, v72, v66
	v_mul_f16_e32 v61, 0xb8b4, v77
	v_mul_f16_e32 v65, 0xbb9c, v78
	;; [unrolled: 1-line block ×4, first 2 shown]
	v_fmac_f16_e32 v79, 0x34f2, v76
	v_fmac_f16_e32 v61, 0x3a79, v83
	;; [unrolled: 1-line block ×3, first 2 shown]
	v_mul_f16_e32 v83, 0x3b9c, v84
	v_mul_f16_e32 v84, 0xb4f2, v71
	v_fmac_f16_e32 v66, 0xb4f2, v60
	v_add_f16_e32 v63, v67, v80
	v_add_f16_e32 v71, v85, v61
	v_mul_u32_u24_e32 v74, 10, v12
	v_fmac_f16_e32 v84, 0x3b9c, v60
	v_add_f16_e32 v60, v1, v65
	v_add_f16_e32 v73, v17, v66
	v_mul_f16_e32 v72, 0xb8b4, v79
	v_sub_f16_e32 v1, v1, v65
	v_add_f16_e32 v65, v35, v24
	v_lshl_add_u32 v94, v74, 1, 0
	v_pack_b32_f16 v60, v60, v73
	v_pack_b32_f16 v63, v63, v71
	v_fmac_f16_e32 v72, 0xba79, v69
	v_fma_f16 v65, -0.5, v65, v15
	v_sub_f16_e32 v71, v50, v47
	v_sub_f16_e32 v17, v17, v66
	ds_write2_b32 v94, v63, v60 offset1:1
	v_add_f16_e32 v60, v36, v25
	v_add_f16_e32 v73, v0, v72
	v_sub_f16_e32 v66, v25, v24
	v_sub_f16_e32 v74, v36, v35
	;; [unrolled: 1-line block ×3, first 2 shown]
	v_fmamk_f16 v63, v71, 0xbb9c, v65
	v_sub_f16_e32 v72, v49, v48
	v_fmac_f16_e32 v65, 0x3b9c, v71
	v_add_f16_e32 v75, v25, v15
	v_fmac_f16_e32 v15, -0.5, v60
	v_add_f16_e32 v66, v74, v66
	v_fmac_f16_e32 v63, 0xb8b4, v72
	v_fmac_f16_e32 v65, 0x38b4, v72
	v_sub_f16_e32 v60, v24, v25
	v_sub_f16_e32 v74, v35, v36
	v_fmamk_f16 v76, v72, 0x3b9c, v15
	v_fmac_f16_e32 v15, 0xbb9c, v72
	v_fmac_f16_e32 v63, 0x34f2, v66
	;; [unrolled: 1-line block ×3, first 2 shown]
	v_add_f16_e32 v60, v74, v60
	v_fmac_f16_e32 v76, 0xb8b4, v71
	v_add_f16_e32 v66, v56, v18
	v_sub_f16_e32 v72, v20, v18
	v_sub_f16_e32 v74, v58, v56
	v_fmac_f16_e32 v15, 0x38b4, v71
	v_add_f16_e32 v71, v58, v20
	v_fma_f16 v97, -0.5, v66, v23
	v_sub_f16_e32 v66, v59, v43
	v_add_f16_e32 v72, v74, v72
	v_add_f16_e32 v74, v20, v23
	v_fmac_f16_e32 v23, -0.5, v71
	v_sub_f16_e32 v71, v46, v45
	v_fmamk_f16 v98, v66, 0xbb9c, v97
	v_fmac_f16_e32 v97, 0x3b9c, v66
	v_sub_f16_e32 v67, v80, v67
	v_sub_f16_e32 v61, v85, v61
	v_fmamk_f16 v99, v71, 0x3b9c, v23
	v_fmac_f16_e32 v23, 0xbb9c, v71
	v_fmac_f16_e32 v76, 0x34f2, v60
	;; [unrolled: 1-line block ×6, first 2 shown]
	v_add_f16_e32 v66, v18, v74
	v_fmac_f16_e32 v83, 0x34f2, v78
	v_sub_f16_e32 v77, v18, v20
	v_sub_f16_e32 v78, v56, v58
	v_pack_b32_f16 v1, v61, v1
	v_add_f16_e32 v60, v56, v66
	v_pack_b32_f16 v61, v73, v67
	v_sub_f16_e32 v20, v20, v58
	v_add_f16_e32 v67, v43, v59
	v_fmac_f16_e32 v98, 0xb8b4, v71
	v_add_f16_e32 v60, v58, v60
	v_add_f16_e32 v58, v45, v46
	v_fmac_f16_e32 v97, 0x38b4, v71
	v_add_f16_e32 v71, v78, v77
	v_sub_f16_e32 v18, v18, v56
	v_add_f16_e32 v101, v59, v44
	v_fma_f16 v100, -0.5, v58, v44
	v_fmac_f16_e32 v44, -0.5, v67
	v_fmac_f16_e32 v99, 0x34f2, v71
	v_fmac_f16_e32 v23, 0x34f2, v71
	v_sub_f16_e32 v66, v59, v46
	v_sub_f16_e32 v71, v43, v45
	;; [unrolled: 1-line block ×4, first 2 shown]
	v_fmamk_f16 v102, v20, 0x3b9c, v100
	v_fmamk_f16 v103, v18, 0xbb9c, v44
	v_fmac_f16_e32 v44, 0x3b9c, v18
	ds_write2_b32 v94, v61, v1 offset0:2 offset1:3
	v_add_f16_e32 v1, v71, v66
	v_add_f16_e32 v56, v58, v56
	v_fmac_f16_e32 v102, 0x38b4, v18
	v_fmac_f16_e32 v103, 0x38b4, v20
	;; [unrolled: 1-line block ×4, first 2 shown]
	v_add_f16_e32 v58, v24, v75
	v_fmac_f16_e32 v102, 0x34f2, v1
	v_fmac_f16_e32 v103, 0x34f2, v56
	;; [unrolled: 1-line block ×5, first 2 shown]
	v_add_f16_e32 v20, v35, v58
	v_mul_f16_e32 v18, 0xb8b4, v102
	v_mul_f16_e32 v56, 0xbb9c, v103
	v_fmac_f16_e32 v100, 0x34f2, v1
	v_mul_f16_e32 v1, 0xbb9c, v44
	v_add_f16_e32 v20, v36, v20
	v_fmac_f16_e32 v18, 0x3a79, v98
	v_fmac_f16_e32 v56, 0x34f2, v99
	;; [unrolled: 1-line block ×4, first 2 shown]
	v_add_f16_e32 v58, v60, v20
	v_sub_f16_e32 v20, v20, v60
	v_add_f16_e32 v59, v63, v18
	v_sub_f16_e32 v18, v63, v18
	v_add_f16_e32 v60, v76, v56
	v_mul_f16_e32 v61, 0xb8b4, v100
	v_add_f16_e32 v63, v15, v1
	v_sub_f16_e32 v1, v15, v1
	v_mul_i32_i24_e32 v15, 10, v13
	v_pack_b32_f16 v0, v17, v0
	v_fmac_f16_e32 v61, 0xba79, v97
	v_pack_b32_f16 v17, v60, v63
	v_pack_b32_f16 v58, v58, v59
	v_add_f16_e32 v59, v30, v31
	v_lshl_add_u32 v15, v15, 1, 0
	v_add_f16_e32 v60, v65, v61
	v_sub_f16_e32 v61, v65, v61
	v_sub_f16_e32 v63, v27, v31
	v_fma_f16 v59, -0.5, v59, v16
	v_sub_f16_e32 v65, v41, v38
	ds_write_b32 v94, v0 offset:16
	v_sub_f16_e32 v0, v32, v30
	ds_write2_b32 v15, v58, v17 offset1:1
	v_add_f16_e32 v17, v32, v27
	v_fmamk_f16 v58, v65, 0xbb9c, v59
	v_sub_f16_e32 v66, v40, v39
	v_fmac_f16_e32 v59, 0x3b9c, v65
	v_add_f16_e32 v0, v0, v63
	v_add_f16_e32 v63, v27, v16
	v_fmac_f16_e32 v16, -0.5, v17
	v_fmac_f16_e32 v58, 0xb8b4, v66
	v_fmac_f16_e32 v59, 0x38b4, v66
	v_sub_f16_e32 v17, v31, v27
	v_sub_f16_e32 v67, v30, v32
	v_fmamk_f16 v71, v66, 0x3b9c, v16
	v_fmac_f16_e32 v16, 0xbb9c, v66
	v_fmac_f16_e32 v58, 0x34f2, v0
	;; [unrolled: 1-line block ×3, first 2 shown]
	v_add_f16_e32 v0, v67, v17
	v_fmac_f16_e32 v71, 0xb8b4, v65
	v_add_f16_e32 v17, v52, v53
	v_sub_f16_e32 v66, v19, v53
	v_sub_f16_e32 v67, v54, v52
	v_fmac_f16_e32 v16, 0x38b4, v65
	v_add_f16_e32 v65, v54, v19
	v_fma_f16 v104, -0.5, v17, v26
	v_sub_f16_e32 v17, v55, v29
	v_add_f16_e32 v66, v67, v66
	v_add_f16_e32 v67, v19, v26
	v_fmac_f16_e32 v26, -0.5, v65
	v_sub_f16_e32 v65, v37, v34
	v_sub_f16_e32 v56, v76, v56
	v_fmamk_f16 v105, v17, 0xbb9c, v104
	v_fmac_f16_e32 v104, 0x3b9c, v17
	v_sub_f16_e32 v72, v53, v19
	v_fmamk_f16 v106, v65, 0x3b9c, v26
	v_fmac_f16_e32 v26, 0xbb9c, v65
	v_sub_f16_e32 v73, v52, v54
	v_fmac_f16_e32 v71, 0x34f2, v0
	v_fmac_f16_e32 v16, 0x34f2, v0
	;; [unrolled: 1-line block ×4, first 2 shown]
	v_add_f16_e32 v17, v53, v67
	v_sub_f16_e32 v19, v19, v54
	v_add_f16_e32 v108, v55, v33
	v_fmac_f16_e32 v105, 0xb8b4, v65
	v_fmac_f16_e32 v104, 0x38b4, v65
	v_add_f16_e32 v0, v52, v17
	v_pack_b32_f16 v17, v18, v56
	v_pack_b32_f16 v18, v60, v20
	v_add_f16_e32 v20, v34, v37
	v_sub_f16_e32 v52, v53, v52
	v_add_f16_e32 v53, v29, v55
	v_add_f16_e32 v0, v54, v0
	v_sub_f16_e32 v54, v55, v37
	v_fma_f16 v107, -0.5, v20, v33
	v_sub_f16_e32 v56, v29, v34
	v_fmac_f16_e32 v33, -0.5, v53
	ds_write2_b32 v15, v18, v17 offset0:2 offset1:3
	v_sub_f16_e32 v18, v37, v55
	v_fmamk_f16 v109, v19, 0x3b9c, v107
	v_sub_f16_e32 v20, v34, v29
	v_fmamk_f16 v110, v52, 0xbb9c, v33
	v_fmac_f16_e32 v33, 0x3b9c, v52
	v_add_f16_e32 v17, v56, v54
	v_fmac_f16_e32 v107, 0xbb9c, v19
	v_fmac_f16_e32 v109, 0x38b4, v52
	v_add_f16_e32 v18, v20, v18
	v_fmac_f16_e32 v110, 0x38b4, v19
	v_fmac_f16_e32 v33, 0xb8b4, v19
	v_add_f16_e32 v65, v73, v72
	v_add_f16_e32 v53, v31, v63
	v_fmac_f16_e32 v109, 0x34f2, v17
	v_fmac_f16_e32 v107, 0xb8b4, v52
	;; [unrolled: 1-line block ×7, first 2 shown]
	v_add_f16_e32 v20, v30, v53
	v_mul_f16_e32 v19, 0xb8b4, v109
	v_fmac_f16_e32 v107, 0x34f2, v17
	v_mul_f16_e32 v17, 0xbb9c, v110
	v_mul_f16_e32 v52, 0xbb9c, v33
	v_add_f16_e32 v20, v32, v20
	v_fmac_f16_e32 v19, 0x3a79, v105
	v_fmac_f16_e32 v104, 0x34f2, v66
	;; [unrolled: 1-line block ×4, first 2 shown]
	v_add_f16_e32 v18, v0, v20
	v_sub_f16_e32 v0, v20, v0
	v_add_f16_e32 v20, v58, v19
	v_mul_f16_e32 v53, 0xb8b4, v107
	v_add_f16_e32 v54, v71, v17
	v_add_f16_e32 v55, v16, v52
	v_pack_b32_f16 v1, v1, v61
	v_sub_f16_e32 v52, v16, v52
	v_fmamk_f16 v111, v57, 0x3b9c, v64
	v_mul_i32_i24_e32 v16, 10, v14
	v_fmac_f16_e32 v64, 0xbb9c, v57
	v_fmac_f16_e32 v53, 0xba79, v104
	ds_write_b32 v15, v1 offset:16
	v_pack_b32_f16 v1, v54, v55
	v_fmac_f16_e32 v111, 0x38b4, v2
	v_pack_b32_f16 v18, v18, v20
	v_lshl_add_u32 v16, v16, 1, 0
	v_fmac_f16_e32 v64, 0xb8b4, v2
	v_mul_f16_e32 v2, 0xba79, v79
	v_sub_f16_e32 v19, v58, v19
	v_sub_f16_e32 v17, v71, v17
	v_add_f16_e32 v56, v59, v53
	v_sub_f16_e32 v53, v59, v53
	v_fmac_f16_e32 v111, 0x34f2, v68
	ds_write2_b32 v16, v18, v1 offset1:1
	v_add_f16_e32 v18, v70, v83
	v_fmac_f16_e32 v64, 0x34f2, v68
	v_fmac_f16_e32 v2, 0x38b4, v69
	v_sub_f16_e32 v69, v70, v83
	v_add_f16_e32 v70, v50, v42
	v_pack_b32_f16 v17, v19, v17
	v_add_f16_e32 v19, v81, v62
	v_pack_b32_f16 v20, v52, v53
	v_add_f16_e32 v52, v111, v82
	v_sub_f16_e32 v62, v62, v81
	v_sub_f16_e32 v68, v111, v82
	v_add_f16_e32 v79, v64, v2
	v_sub_f16_e32 v2, v64, v2
	v_add_f16_e32 v64, v49, v70
	v_add_f16_e32 v81, v48, v49
	;; [unrolled: 1-line block ×3, first 2 shown]
	v_sub_f16_e32 v25, v25, v36
	v_sub_f16_e32 v24, v24, v35
	v_add_f16_e32 v35, v48, v64
	v_fma_f16 v64, -0.5, v81, v42
	v_fmac_f16_e32 v42, -0.5, v82
	v_sub_f16_e32 v36, v50, v49
	v_sub_f16_e32 v70, v47, v48
	;; [unrolled: 1-line block ×3, first 2 shown]
	v_add_f16_e32 v35, v47, v35
	v_sub_f16_e32 v47, v48, v47
	v_fmamk_f16 v48, v25, 0x3b9c, v64
	v_fmac_f16_e32 v64, 0xbb9c, v25
	v_add_f16_e32 v46, v46, v101
	v_fmamk_f16 v50, v24, 0xbb9c, v42
	v_fmac_f16_e32 v42, 0x3b9c, v24
	v_add_f16_e32 v36, v70, v36
	v_fmac_f16_e32 v48, 0x38b4, v24
	v_fmac_f16_e32 v64, 0xb8b4, v24
	v_add_f16_e32 v24, v47, v49
	v_fmac_f16_e32 v50, 0x38b4, v25
	;; [unrolled: 3-line block ×3, first 2 shown]
	v_fmac_f16_e32 v64, 0x34f2, v36
	v_fmac_f16_e32 v50, 0x34f2, v24
	;; [unrolled: 1-line block ×3, first 2 shown]
	v_mul_f16_e32 v24, 0x38b4, v98
	v_mul_f16_e32 v36, 0x3b9c, v99
	;; [unrolled: 1-line block ×3, first 2 shown]
	v_add_f16_e32 v25, v43, v25
	v_sub_f16_e32 v27, v27, v32
	v_fmac_f16_e32 v24, 0x3a79, v102
	v_fmac_f16_e32 v36, 0x34f2, v103
	;; [unrolled: 1-line block ×3, first 2 shown]
	v_add_f16_e32 v23, v25, v35
	v_sub_f16_e32 v35, v35, v25
	v_add_f16_e32 v25, v41, v28
	v_add_f16_e32 v43, v48, v24
	v_sub_f16_e32 v24, v48, v24
	v_add_f16_e32 v46, v50, v36
	v_sub_f16_e32 v36, v50, v36
	v_sub_f16_e32 v32, v41, v40
	v_add_f16_e32 v25, v40, v25
	v_sub_f16_e32 v48, v38, v39
	v_add_f16_e32 v49, v39, v40
	v_add_f16_e32 v50, v38, v41
	v_sub_f16_e32 v30, v31, v30
	v_add_f16_e32 v25, v39, v25
	v_add_f16_e32 v31, v48, v32
	v_fma_f16 v32, -0.5, v49, v28
	v_fmac_f16_e32 v28, -0.5, v50
	v_sub_f16_e32 v40, v40, v41
	v_add_f16_e32 v25, v38, v25
	v_sub_f16_e32 v38, v39, v38
	v_fmamk_f16 v39, v27, 0x3b9c, v32
	v_fmac_f16_e32 v32, 0xbb9c, v27
	v_fmamk_f16 v41, v30, 0xbb9c, v28
	v_fmac_f16_e32 v28, 0x3b9c, v30
	v_add_f16_e32 v37, v37, v108
	v_fmac_f16_e32 v39, 0x38b4, v30
	v_fmac_f16_e32 v32, 0xb8b4, v30
	v_add_f16_e32 v30, v38, v40
	v_fmac_f16_e32 v41, 0x38b4, v27
	v_fmac_f16_e32 v28, 0xb8b4, v27
	v_mul_f16_e32 v45, 0xba79, v100
	v_add_f16_e32 v27, v34, v37
	v_mul_f16_e32 v33, 0xb4f2, v33
	v_fmac_f16_e32 v41, 0x34f2, v30
	v_fmac_f16_e32 v28, 0x34f2, v30
	v_mul_f16_e32 v30, 0x38b4, v105
	v_mul_f16_e32 v34, 0xba79, v107
	v_fmac_f16_e32 v45, 0x38b4, v97
	v_pack_b32_f16 v0, v56, v0
	v_add_f16_e32 v53, v51, v84
	v_sub_f16_e32 v51, v51, v84
	v_fmac_f16_e32 v39, 0x34f2, v31
	v_fmac_f16_e32 v32, 0x34f2, v31
	v_mul_f16_e32 v31, 0x3b9c, v106
	v_fmac_f16_e32 v30, 0x3a79, v109
	v_fmac_f16_e32 v33, 0x3b9c, v26
	;; [unrolled: 1-line block ×3, first 2 shown]
	v_add_f16_e32 v47, v42, v44
	v_sub_f16_e32 v42, v42, v44
	v_add_f16_e32 v44, v64, v45
	s_load_dwordx2 s[0:1], s[4:5], 0x0
	ds_write2_b32 v16, v0, v17 offset0:2 offset1:3
	ds_write_b32 v16, v20 offset:16
	v_mad_i32_i24 v17, 0xffffffee, v12, v94
	v_mad_i32_i24 v0, 0xffffffee, v13, v15
	v_pack_b32_f16 v112, v18, v53
	v_pack_b32_f16 v113, v19, v52
	v_lshl_add_u32 v19, v4, 1, 0
	v_add_f16_e32 v27, v29, v27
	v_fmac_f16_e32 v31, 0x34f2, v110
	v_add_f16_e32 v29, v39, v30
	v_sub_f16_e32 v30, v39, v30
	v_add_f16_e32 v38, v28, v33
	v_sub_f16_e32 v28, v28, v33
	v_add_f16_e32 v33, v32, v34
	v_sub_f16_e32 v32, v32, v34
	v_pack_b32_f16 v34, v68, v69
	v_pack_b32_f16 v39, v79, v62
	;; [unrolled: 1-line block ×3, first 2 shown]
	v_mad_i32_i24 v1, 0xffffffee, v14, v16
	v_lshl_add_u32 v18, v5, 1, 0
	v_pack_b32_f16 v40, v46, v47
	v_pack_b32_f16 v43, v23, v43
	v_lshl_add_u32 v63, v7, 1, 0
	v_pack_b32_f16 v24, v24, v36
	v_pack_b32_f16 v35, v44, v35
	v_lshl_add_u32 v65, v22, 1, 0
	v_lshl_add_u32 v66, v6, 1, 0
	;; [unrolled: 1-line block ×3, first 2 shown]
	s_waitcnt lgkmcnt(0)
	s_barrier
	buffer_gl0_inv
	ds_read_u16 v89, v17 offset:4400
	ds_read_u16 v87, v17 offset:4600
	;; [unrolled: 1-line block ×3, first 2 shown]
	ds_read_u16 v60, v17
	ds_read_u16 v93, v17 offset:2000
	ds_read_u16 v92, v17 offset:2200
	;; [unrolled: 1-line block ×7, first 2 shown]
	v_lshl_add_u32 v67, v21, 1, 0
	ds_read_u16 v59, v0
	ds_read_u16 v58, v1
	;; [unrolled: 1-line block ×6, first 2 shown]
	ds_read_u16 v75, v17 offset:3400
	ds_read_u16 v71, v17 offset:3600
	;; [unrolled: 1-line block ×6, first 2 shown]
	ds_read_u16 v54, v20
	ds_read_u16 v95, v17 offset:4200
	ds_read_u16 v96, v17 offset:4000
	ds_read_u16 v72, v17 offset:3800
	ds_read_u16 v57, v19
	ds_read_u16 v61, v18
	ds_read_u16 v77, v17 offset:5800
	s_waitcnt lgkmcnt(0)
	s_barrier
	buffer_gl0_inv
	ds_write2_b32 v94, v113, v112 offset1:1
	v_sub_f16_e32 v45, v64, v45
	v_add_f16_e32 v26, v27, v25
	v_sub_f16_e32 v27, v25, v27
	v_add_f16_e32 v37, v41, v31
	v_sub_f16_e32 v31, v41, v31
	v_and_b32_e32 v25, 0xff, v12
	ds_write2_b32 v94, v39, v34 offset0:2 offset1:3
	ds_write_b32 v94, v2 offset:16
	ds_write2_b32 v15, v43, v40 offset1:1
	ds_write2_b32 v15, v35, v24 offset0:2 offset1:3
	v_and_b32_e32 v24, 0xff, v13
	v_pack_b32_f16 v2, v42, v45
	v_mul_lo_u16 v41, 0xcd, v25
	v_pack_b32_f16 v35, v37, v38
	v_pack_b32_f16 v30, v30, v31
	;; [unrolled: 1-line block ×3, first 2 shown]
	v_mul_lo_u16 v31, 0xcd, v24
	v_mov_b32_e32 v37, 0xcccd
	v_pack_b32_f16 v29, v26, v29
	v_pack_b32_f16 v27, v33, v27
	v_lshrrev_b16 v23, 11, v41
	ds_write_b32 v15, v2 offset:16
	ds_write2_b32 v16, v29, v35 offset1:1
	ds_write2_b32 v16, v27, v30 offset0:2 offset1:3
	v_lshrrev_b16 v27, 11, v31
	ds_write_b32 v16, v28 offset:16
	v_mul_u32_u24_sdwa v28, v14, v37 dst_sel:DWORD dst_unused:UNUSED_PAD src0_sel:WORD_0 src1_sel:DWORD
	v_mul_u32_u24_sdwa v31, v5, v37 dst_sel:DWORD dst_unused:UNUSED_PAD src0_sel:WORD_0 src1_sel:DWORD
	v_mul_lo_u16 v34, v23, 10
	v_mul_lo_u16 v30, v27, 10
	v_mov_b32_e32 v48, 3
	v_lshrrev_b32_e32 v29, 19, v28
	v_lshrrev_b32_e32 v28, 19, v31
	v_sub_nc_u16 v26, v12, v34
	v_sub_nc_u16 v30, v13, v30
	v_mul_u32_u24_sdwa v32, v7, v37 dst_sel:DWORD dst_unused:UNUSED_PAD src0_sel:WORD_0 src1_sel:DWORD
	s_waitcnt lgkmcnt(0)
	v_mul_lo_u16 v34, v28, 10
	v_lshlrev_b32_sdwa v2, v48, v26 dst_sel:DWORD dst_unused:UNUSED_PAD src0_sel:DWORD src1_sel:BYTE_0
	v_lshlrev_b32_sdwa v31, v48, v30 dst_sel:DWORD dst_unused:UNUSED_PAD src0_sel:DWORD src1_sel:BYTE_0
	s_barrier
	buffer_gl0_inv
	v_sub_nc_u16 v5, v5, v34
	s_clause 0x1
	global_load_dwordx2 v[38:39], v2, s[12:13]
	global_load_dwordx2 v[40:41], v31, s[12:13]
	v_mov_b32_e32 v113, 60
	v_mul_u32_u24_e32 v28, 60, v28
	v_lshlrev_b32_sdwa v35, v48, v5 dst_sel:DWORD dst_unused:UNUSED_PAD src0_sel:DWORD src1_sel:WORD_0
	v_mul_lo_u16 v25, 0x89, v25
	v_mul_u32_u24_sdwa v23, v23, v113 dst_sel:DWORD dst_unused:UNUSED_PAD src0_sel:WORD_0 src1_sel:DWORD
	global_load_dwordx2 v[44:45], v35, s[12:13]
	v_lshrrev_b32_e32 v31, 19, v32
	v_mul_lo_u16 v2, v29, 10
	v_mul_u32_u24_sdwa v32, v22, v37 dst_sel:DWORD dst_unused:UNUSED_PAD src0_sel:WORD_0 src1_sel:DWORD
	v_mul_lo_u16 v34, v31, 10
	v_sub_nc_u16 v33, v14, v2
	v_lshrrev_b32_e32 v32, 19, v32
	v_sub_nc_u16 v7, v7, v34
	v_lshlrev_b32_sdwa v2, v48, v33 dst_sel:DWORD dst_unused:UNUSED_PAD src0_sel:DWORD src1_sel:WORD_0
	v_lshlrev_b32_sdwa v34, v48, v7 dst_sel:DWORD dst_unused:UNUSED_PAD src0_sel:DWORD src1_sel:WORD_0
	s_clause 0x1
	global_load_dwordx2 v[42:43], v2, s[12:13]
	global_load_dwordx2 v[46:47], v34, s[12:13]
	v_mul_lo_u16 v2, v32, 10
	v_sub_nc_u16 v35, v22, v2
	v_mul_u32_u24_sdwa v2, v4, v37 dst_sel:DWORD dst_unused:UNUSED_PAD src0_sel:WORD_0 src1_sel:DWORD
	v_lshlrev_b32_sdwa v22, v48, v35 dst_sel:DWORD dst_unused:UNUSED_PAD src0_sel:DWORD src1_sel:WORD_0
	v_lshrrev_b32_e32 v34, 19, v2
	v_mul_u32_u24_sdwa v2, v6, v37 dst_sel:DWORD dst_unused:UNUSED_PAD src0_sel:WORD_0 src1_sel:DWORD
	global_load_dwordx2 v[97:98], v22, s[12:13]
	v_mul_lo_u16 v36, v34, 10
	v_sub_nc_u16 v4, v4, v36
	v_lshlrev_b32_sdwa v50, v48, v4 dst_sel:DWORD dst_unused:UNUSED_PAD src0_sel:DWORD src1_sel:WORD_0
	global_load_dwordx2 v[99:100], v50, s[12:13]
	v_lshrrev_b32_e32 v22, 19, v2
	v_mul_u32_u24_sdwa v2, v21, v37 dst_sel:DWORD dst_unused:UNUSED_PAD src0_sel:WORD_0 src1_sel:DWORD
	v_mul_lo_u16 v49, v22, 10
	v_lshrrev_b32_e32 v36, 19, v2
	v_mul_u32_u24_sdwa v2, v3, v37 dst_sel:DWORD dst_unused:UNUSED_PAD src0_sel:WORD_0 src1_sel:DWORD
	v_mul_u32_u24_e32 v22, 60, v22
	v_sub_nc_u16 v6, v6, v49
	v_mul_lo_u16 v49, v36, 10
	v_lshrrev_b32_e32 v37, 19, v2
	v_lshlrev_b32_sdwa v50, v48, v6 dst_sel:DWORD dst_unused:UNUSED_PAD src0_sel:DWORD src1_sel:WORD_0
	v_sub_nc_u16 v21, v21, v49
	v_mul_lo_u16 v2, v37, 10
	global_load_dwordx2 v[101:102], v50, s[12:13]
	v_lshlrev_b32_sdwa v49, v48, v21 dst_sel:DWORD dst_unused:UNUSED_PAD src0_sel:DWORD src1_sel:WORD_0
	v_sub_nc_u16 v3, v3, v2
	global_load_dwordx2 v[103:104], v49, s[12:13]
	v_lshlrev_b32_sdwa v2, v48, v3 dst_sel:DWORD dst_unused:UNUSED_PAD src0_sel:DWORD src1_sel:WORD_0
	global_load_dwordx2 v[105:106], v2, s[12:13]
	ds_read_u16 v2, v17 offset:2000
	ds_read_u16 v48, v17 offset:4000
	;; [unrolled: 1-line block ×9, first 2 shown]
	ds_read_u16 v49, v17
	ds_read_u16 v79, v17 offset:4400
	ds_read_u16 v81, v17 offset:4600
	;; [unrolled: 1-line block ×4, first 2 shown]
	s_waitcnt vmcnt(9) lgkmcnt(13)
	v_mul_f16_sdwa v109, v2, v38 dst_sel:DWORD dst_unused:UNUSED_PAD src0_sel:DWORD src1_sel:WORD_1
	v_mul_f16_sdwa v62, v93, v38 dst_sel:DWORD dst_unused:UNUSED_PAD src0_sel:DWORD src1_sel:WORD_1
	s_waitcnt lgkmcnt(12)
	v_mul_f16_sdwa v112, v48, v39 dst_sel:DWORD dst_unused:UNUSED_PAD src0_sel:DWORD src1_sel:WORD_1
	s_waitcnt vmcnt(8)
	v_mul_f16_sdwa v68, v95, v41 dst_sel:DWORD dst_unused:UNUSED_PAD src0_sel:DWORD src1_sel:WORD_1
	s_waitcnt lgkmcnt(10)
	v_mul_f16_sdwa v94, v51, v41 dst_sel:DWORD dst_unused:UNUSED_PAD src0_sel:DWORD src1_sel:WORD_1
	v_fmac_f16_e32 v109, v93, v38
	v_fma_f16 v2, v2, v38, -v62
	v_mul_f16_sdwa v38, v96, v39 dst_sel:DWORD dst_unused:UNUSED_PAD src0_sel:DWORD src1_sel:WORD_1
	v_fmac_f16_e32 v112, v96, v39
	v_mul_f16_sdwa v93, v50, v40 dst_sel:DWORD dst_unused:UNUSED_PAD src0_sel:DWORD src1_sel:WORD_1
	v_mul_f16_sdwa v62, v92, v40 dst_sel:DWORD dst_unused:UNUSED_PAD src0_sel:DWORD src1_sel:WORD_1
	v_fmac_f16_e32 v94, v95, v41
	v_fma_f16 v38, v48, v39, -v38
	s_waitcnt vmcnt(7) lgkmcnt(2)
	v_mul_f16_sdwa v83, v81, v45 dst_sel:DWORD dst_unused:UNUSED_PAD src0_sel:DWORD src1_sel:WORD_1
	v_fmac_f16_e32 v93, v92, v40
	v_fma_f16 v92, v51, v41, -v68
	v_fma_f16 v96, v50, v40, -v62
	v_mul_f16_sdwa v62, v69, v44 dst_sel:DWORD dst_unused:UNUSED_PAD src0_sel:DWORD src1_sel:WORD_1
	v_fmac_f16_e32 v83, v87, v45
	v_fmac_f16_e32 v62, v90, v44
	s_waitcnt vmcnt(6)
	v_mul_f16_sdwa v39, v91, v42 dst_sel:DWORD dst_unused:UNUSED_PAD src0_sel:DWORD src1_sel:WORD_1
	v_mul_f16_sdwa v68, v79, v43 dst_sel:DWORD dst_unused:UNUSED_PAD src0_sel:DWORD src1_sel:WORD_1
	;; [unrolled: 1-line block ×4, first 2 shown]
	s_waitcnt vmcnt(5)
	v_mul_f16_sdwa v41, v88, v46 dst_sel:DWORD dst_unused:UNUSED_PAD src0_sel:DWORD src1_sel:WORD_1
	v_fma_f16 v82, v64, v42, -v39
	v_mul_f16_sdwa v39, v90, v44 dst_sel:DWORD dst_unused:UNUSED_PAD src0_sel:DWORD src1_sel:WORD_1
	v_fmac_f16_e32 v68, v89, v43
	v_fma_f16 v79, v79, v43, -v40
	v_mul_f16_sdwa v50, v70, v46 dst_sel:DWORD dst_unused:UNUSED_PAD src0_sel:DWORD src1_sel:WORD_1
	v_fma_f16 v70, v70, v46, -v41
	v_fma_f16 v89, v69, v44, -v39
	ds_read_u16 v39, v17 offset:5000
	ds_read_u16 v41, v17 offset:3400
	;; [unrolled: 1-line block ×4, first 2 shown]
	v_mul_f16_sdwa v40, v87, v45 dst_sel:DWORD dst_unused:UNUSED_PAD src0_sel:DWORD src1_sel:WORD_1
	s_waitcnt lgkmcnt(5)
	v_mul_f16_sdwa v69, v110, v47 dst_sel:DWORD dst_unused:UNUSED_PAD src0_sel:DWORD src1_sel:WORD_1
	v_fmac_f16_e32 v51, v91, v42
	v_fmac_f16_e32 v50, v88, v46
	v_fma_f16 v84, v81, v45, -v40
	v_mul_f16_sdwa v40, v85, v47 dst_sel:DWORD dst_unused:UNUSED_PAD src0_sel:DWORD src1_sel:WORD_1
	s_waitcnt vmcnt(4)
	v_mul_f16_sdwa v64, v107, v97 dst_sel:DWORD dst_unused:UNUSED_PAD src0_sel:DWORD src1_sel:WORD_1
	v_mul_f16_sdwa v42, v86, v97 dst_sel:DWORD dst_unused:UNUSED_PAD src0_sel:DWORD src1_sel:WORD_1
	v_fmac_f16_e32 v69, v85, v47
	v_fma_f16 v81, v110, v47, -v40
	v_fmac_f16_e32 v64, v86, v97
	ds_read_u16 v40, v17 offset:3600
	ds_read_u16 v45, v17 offset:5600
	;; [unrolled: 1-line block ×3, first 2 shown]
	ds_read_u16 v85, v20
	ds_read_u16 v86, v19
	;; [unrolled: 1-line block ×3, first 2 shown]
	v_mul_f16_sdwa v47, v80, v98 dst_sel:DWORD dst_unused:UNUSED_PAD src0_sel:DWORD src1_sel:WORD_1
	v_fma_f16 v91, v107, v97, -v42
	ds_read_u16 v65, v65
	ds_read_u16 v66, v66
	;; [unrolled: 1-line block ×6, first 2 shown]
	s_waitcnt lgkmcnt(15)
	v_mul_f16_sdwa v88, v39, v98 dst_sel:DWORD dst_unused:UNUSED_PAD src0_sel:DWORD src1_sel:WORD_1
	s_waitcnt vmcnt(0) lgkmcnt(0)
	s_barrier
	buffer_gl0_inv
	v_mul_f16_sdwa v95, v43, v100 dst_sel:DWORD dst_unused:UNUSED_PAD src0_sel:DWORD src1_sel:WORD_1
	v_fmac_f16_e32 v88, v80, v98
	v_fma_f16 v80, v39, v98, -v47
	v_mul_f16_sdwa v39, v78, v100 dst_sel:DWORD dst_unused:UNUSED_PAD src0_sel:DWORD src1_sel:WORD_1
	v_mul_f16_sdwa v90, v108, v99 dst_sel:DWORD dst_unused:UNUSED_PAD src0_sel:DWORD src1_sel:WORD_1
	;; [unrolled: 1-line block ×3, first 2 shown]
	v_fmac_f16_e32 v95, v78, v100
	v_add_f16_e32 v47, v64, v88
	v_fma_f16 v78, v43, v100, -v39
	v_fmac_f16_e32 v90, v74, v99
	v_fma_f16 v74, v108, v99, -v48
	v_add_f16_e32 v48, v90, v95
	v_mul_f16_sdwa v97, v41, v101 dst_sel:DWORD dst_unused:UNUSED_PAD src0_sel:DWORD src1_sel:WORD_1
	v_mul_f16_sdwa v42, v75, v101 dst_sel:DWORD dst_unused:UNUSED_PAD src0_sel:DWORD src1_sel:WORD_1
	;; [unrolled: 1-line block ×4, first 2 shown]
	v_fmac_f16_e32 v97, v75, v101
	v_fma_f16 v75, v41, v101, -v42
	v_mul_f16_sdwa v99, v40, v103 dst_sel:DWORD dst_unused:UNUSED_PAD src0_sel:DWORD src1_sel:WORD_1
	v_fmac_f16_e32 v98, v76, v102
	v_mul_f16_sdwa v41, v71, v103 dst_sel:DWORD dst_unused:UNUSED_PAD src0_sel:DWORD src1_sel:WORD_1
	v_mul_f16_sdwa v76, v45, v104 dst_sel:DWORD dst_unused:UNUSED_PAD src0_sel:DWORD src1_sel:WORD_1
	v_fma_f16 v100, v44, v102, -v39
	v_mul_f16_sdwa v39, v73, v104 dst_sel:DWORD dst_unused:UNUSED_PAD src0_sel:DWORD src1_sel:WORD_1
	v_fmac_f16_e32 v99, v71, v103
	v_fma_f16 v71, v40, v103, -v41
	v_fmac_f16_e32 v76, v73, v104
	v_mul_f16_sdwa v73, v111, v105 dst_sel:DWORD dst_unused:UNUSED_PAD src0_sel:DWORD src1_sel:WORD_1
	v_mul_f16_sdwa v40, v72, v105 dst_sel:DWORD dst_unused:UNUSED_PAD src0_sel:DWORD src1_sel:WORD_1
	v_fma_f16 v101, v45, v104, -v39
	v_mul_f16_sdwa v102, v46, v106 dst_sel:DWORD dst_unused:UNUSED_PAD src0_sel:DWORD src1_sel:WORD_1
	v_mul_f16_sdwa v39, v77, v106 dst_sel:DWORD dst_unused:UNUSED_PAD src0_sel:DWORD src1_sel:WORD_1
	v_fmac_f16_e32 v73, v72, v105
	v_fma_f16 v72, v111, v105, -v40
	v_add_f16_e32 v40, v109, v112
	v_fmac_f16_e32 v102, v77, v106
	v_fma_f16 v77, v46, v106, -v39
	v_add_f16_e32 v39, v2, v38
	v_add_f16_e32 v41, v60, v109
	v_fmac_f16_e32 v60, -0.5, v40
	v_add_f16_e32 v40, v49, v2
	v_sub_f16_e32 v2, v2, v38
	v_fmac_f16_e32 v49, -0.5, v39
	v_add_f16_e32 v39, v41, v112
	v_add_f16_e32 v41, v93, v94
	v_sub_f16_e32 v42, v109, v112
	v_fmamk_f16 v43, v2, 0xbaee, v60
	v_fmac_f16_e32 v60, 0x3aee, v2
	v_add_f16_e32 v44, v59, v93
	v_fmac_f16_e32 v59, -0.5, v41
	v_sub_f16_e32 v2, v96, v92
	v_add_f16_e32 v103, v40, v38
	v_add_f16_e32 v38, v51, v68
	;; [unrolled: 1-line block ×3, first 2 shown]
	v_fmamk_f16 v104, v42, 0x3aee, v49
	v_fmac_f16_e32 v49, 0xbaee, v42
	v_fmamk_f16 v40, v2, 0xbaee, v59
	v_add_f16_e32 v42, v58, v51
	v_fmac_f16_e32 v58, -0.5, v38
	v_sub_f16_e32 v38, v82, v79
	v_add_f16_e32 v45, v61, v62
	v_fmac_f16_e32 v61, -0.5, v41
	v_sub_f16_e32 v41, v89, v84
	v_fmac_f16_e32 v59, 0x3aee, v2
	v_add_f16_e32 v2, v50, v69
	v_fmamk_f16 v46, v38, 0xbaee, v58
	v_fmac_f16_e32 v58, 0x3aee, v38
	v_fmamk_f16 v38, v41, 0xbaee, v61
	v_fmac_f16_e32 v61, 0x3aee, v41
	v_add_f16_e32 v41, v56, v50
	v_fmac_f16_e32 v56, -0.5, v2
	v_sub_f16_e32 v2, v70, v81
	v_add_f16_e32 v107, v97, v98
	v_add_f16_e32 v105, v55, v64
	v_fmac_f16_e32 v55, -0.5, v47
	v_sub_f16_e32 v47, v91, v80
	v_add_f16_e32 v106, v57, v90
	v_fmac_f16_e32 v57, -0.5, v48
	v_sub_f16_e32 v48, v74, v78
	v_fmamk_f16 v108, v2, 0xbaee, v56
	v_fmac_f16_e32 v56, 0x3aee, v2
	v_add_f16_e32 v110, v53, v97
	v_fmac_f16_e32 v53, -0.5, v107
	v_sub_f16_e32 v2, v75, v100
	v_add_f16_e32 v107, v99, v76
	v_fmamk_f16 v109, v47, 0xbaee, v55
	v_fmac_f16_e32 v55, 0x3aee, v47
	v_fmamk_f16 v47, v48, 0xbaee, v57
	v_fmac_f16_e32 v57, 0x3aee, v48
	;; [unrolled: 2-line block ×3, first 2 shown]
	v_add_f16_e32 v111, v52, v99
	v_fmac_f16_e32 v52, -0.5, v107
	v_add_f16_e32 v107, v73, v102
	v_mov_b32_e32 v2, 1
	v_sub_f16_e32 v112, v71, v101
	v_add_f16_e32 v114, v54, v73
	v_sub_f16_e32 v50, v50, v69
	v_fmac_f16_e32 v54, -0.5, v107
	v_sub_f16_e32 v107, v72, v77
	v_lshlrev_b32_sdwa v26, v2, v26 dst_sel:DWORD dst_unused:UNUSED_PAD src0_sel:DWORD src1_sel:BYTE_0
	v_fmamk_f16 v115, v112, 0xbaee, v52
	v_fmac_f16_e32 v52, 0x3aee, v112
	v_lshlrev_b32_sdwa v5, v2, v5 dst_sel:DWORD dst_unused:UNUSED_PAD src0_sel:DWORD src1_sel:WORD_0
	v_fmamk_f16 v112, v107, 0xbaee, v54
	v_fmac_f16_e32 v54, 0x3aee, v107
	v_add3_u32 v107, 0, v23, v26
	v_mul_u32_u24_sdwa v23, v27, v113 dst_sel:DWORD dst_unused:UNUSED_PAD src0_sel:WORD_0 src1_sel:DWORD
	v_lshlrev_b32_sdwa v26, v2, v30 dst_sel:DWORD dst_unused:UNUSED_PAD src0_sel:DWORD src1_sel:BYTE_0
	v_mul_u32_u24_e32 v27, 60, v29
	ds_write_b16 v107, v39
	ds_write_b16 v107, v43 offset:20
	ds_write_b16 v107, v60 offset:40
	v_add3_u32 v113, 0, v23, v26
	v_add_f16_e32 v23, v44, v94
	v_lshlrev_b32_sdwa v26, v2, v33 dst_sel:DWORD dst_unused:UNUSED_PAD src0_sel:DWORD src1_sel:WORD_0
	v_add3_u32 v5, 0, v28, v5
	v_lshlrev_b32_sdwa v7, v2, v7 dst_sel:DWORD dst_unused:UNUSED_PAD src0_sel:DWORD src1_sel:WORD_0
	ds_write_b16 v113, v40 offset:20
	ds_write_b16 v113, v23
	v_add3_u32 v60, 0, v27, v26
	v_add_f16_e32 v23, v42, v68
	v_add_f16_e32 v26, v45, v83
	ds_write_b16 v113, v59 offset:40
	ds_write_b16 v60, v23
	ds_write_b16 v60, v46 offset:20
	ds_write_b16 v60, v58 offset:40
	ds_write_b16 v5, v26
	v_lshlrev_b32_sdwa v26, v2, v35 dst_sel:DWORD dst_unused:UNUSED_PAD src0_sel:DWORD src1_sel:WORD_0
	v_mul_u32_u24_e32 v27, 60, v32
	v_mul_u32_u24_e32 v23, 60, v31
	v_lshlrev_b32_sdwa v4, v2, v4 dst_sel:DWORD dst_unused:UNUSED_PAD src0_sel:DWORD src1_sel:WORD_0
	v_lshlrev_b32_sdwa v6, v2, v6 dst_sel:DWORD dst_unused:UNUSED_PAD src0_sel:DWORD src1_sel:WORD_0
	ds_write_b16 v5, v38 offset:20
	ds_write_b16 v5, v61 offset:40
	v_add3_u32 v28, 0, v27, v26
	v_mul_u32_u24_e32 v27, 60, v34
	v_add3_u32 v7, 0, v23, v7
	v_add_f16_e32 v23, v41, v69
	v_add_f16_e32 v26, v105, v88
	ds_write_b16 v7, v23
	ds_write_b16 v7, v108 offset:20
	ds_write_b16 v7, v56 offset:40
	ds_write_b16 v28, v26
	v_add3_u32 v58, 0, v27, v4
	v_add_f16_e32 v4, v106, v95
	ds_write_b16 v28, v109 offset:20
	ds_write_b16 v28, v55 offset:40
	ds_write_b16 v58, v4
	ds_write_b16 v58, v47 offset:20
	v_add3_u32 v6, 0, v22, v6
	v_add_f16_e32 v4, v110, v98
	v_lshlrev_b32_sdwa v21, v2, v21 dst_sel:DWORD dst_unused:UNUSED_PAD src0_sel:DWORD src1_sel:WORD_0
	v_mul_u32_u24_e32 v22, 60, v36
	v_lshlrev_b32_sdwa v3, v2, v3 dst_sel:DWORD dst_unused:UNUSED_PAD src0_sel:DWORD src1_sel:WORD_0
	v_mul_u32_u24_e32 v23, 60, v37
	ds_write_b16 v58, v57 offset:40
	ds_write_b16 v6, v4
	v_add3_u32 v21, 0, v22, v21
	v_add_f16_e32 v4, v111, v76
	v_add3_u32 v22, 0, v23, v3
	v_add_f16_e32 v3, v114, v102
	ds_write_b16 v6, v48 offset:20
	ds_write_b16 v6, v53 offset:40
	ds_write_b16 v21, v4
	ds_write_b16 v21, v115 offset:20
	ds_write_b16 v21, v52 offset:40
	ds_write_b16 v22, v3
	ds_write_b16 v22, v112 offset:20
	ds_write_b16 v22, v54 offset:40
	v_add_f16_e32 v4, v96, v92
	v_add_f16_e32 v54, v116, v96
	s_waitcnt lgkmcnt(0)
	s_barrier
	buffer_gl0_inv
	v_fmac_f16_e32 v116, -0.5, v4
	v_sub_f16_e32 v4, v93, v94
	v_add_f16_e32 v54, v54, v92
	ds_read_u16 v26, v17
	ds_read_u16 v41, v17 offset:800
	ds_read_u16 v35, v17 offset:2600
	;; [unrolled: 1-line block ×4, first 2 shown]
	ds_read_u16 v61, v20
	ds_read_u16 v23, v0
	;; [unrolled: 1-line block ×3, first 2 shown]
	ds_read_u16 v56, v17 offset:2400
	ds_read_u16 v29, v17 offset:2200
	;; [unrolled: 1-line block ×19, first 2 shown]
	ds_read_u16 v93, v19
	ds_read_u16 v55, v18
	ds_read_u16 v37, v17 offset:5800
	v_fmamk_f16 v57, v4, 0x3aee, v116
	v_fmac_f16_e32 v116, 0xbaee, v4
	v_add_f16_e32 v4, v82, v79
	s_waitcnt lgkmcnt(0)
	s_barrier
	buffer_gl0_inv
	ds_write_b16 v107, v103
	ds_write_b16 v107, v104 offset:20
	ds_write_b16 v107, v49 offset:40
	ds_write_b16 v113, v54
	v_add_f16_e32 v49, v89, v84
	v_add_f16_e32 v54, v117, v82
	v_fmac_f16_e32 v117, -0.5, v4
	v_sub_f16_e32 v4, v51, v68
	v_add_f16_e32 v51, v87, v89
	v_fmac_f16_e32 v87, -0.5, v49
	v_sub_f16_e32 v49, v62, v83
	ds_write_b16 v113, v57 offset:20
	ds_write_b16 v113, v116 offset:40
	v_fmamk_f16 v57, v4, 0x3aee, v117
	v_fmac_f16_e32 v117, 0xbaee, v4
	v_add_f16_e32 v4, v51, v84
	v_add_f16_e32 v51, v70, v81
	v_fmamk_f16 v59, v49, 0x3aee, v87
	v_fmac_f16_e32 v87, 0xbaee, v49
	v_add_f16_e32 v49, v91, v80
	v_add_f16_e32 v62, v63, v70
	v_fmac_f16_e32 v63, -0.5, v51
	v_add_f16_e32 v51, v65, v91
	v_add_f16_e32 v54, v54, v79
	v_fmac_f16_e32 v65, -0.5, v49
	v_sub_f16_e32 v49, v64, v88
	v_add_f16_e32 v62, v62, v81
	v_fmamk_f16 v64, v50, 0x3aee, v63
	v_fmac_f16_e32 v63, 0xbaee, v50
	v_add_f16_e32 v50, v51, v80
	v_add_f16_e32 v51, v74, v78
	v_fmamk_f16 v68, v49, 0x3aee, v65
	v_fmac_f16_e32 v65, 0xbaee, v49
	v_add_f16_e32 v49, v75, v100
	ds_write_b16 v60, v54
	ds_write_b16 v60, v57 offset:20
	ds_write_b16 v60, v117 offset:40
	ds_write_b16 v5, v4
	ds_write_b16 v5, v59 offset:20
	ds_write_b16 v5, v87 offset:40
	ds_write_b16 v7, v62
	v_lshrrev_b16 v4, 12, v25
	v_add_f16_e32 v69, v86, v74
	v_fmac_f16_e32 v86, -0.5, v51
	v_sub_f16_e32 v51, v90, v95
	v_add_f16_e32 v70, v66, v75
	v_fmac_f16_e32 v66, -0.5, v49
	v_sub_f16_e32 v49, v97, v98
	v_mul_lo_u16 v5, v4, 30
	v_fmamk_f16 v74, v51, 0x3aee, v86
	v_fmac_f16_e32 v86, 0xbaee, v51
	v_add_f16_e32 v51, v70, v100
	v_add_f16_e32 v70, v71, v101
	v_add_f16_e32 v71, v67, v71
	v_fmamk_f16 v75, v49, 0x3aee, v66
	v_fmac_f16_e32 v66, 0xbaee, v49
	v_add_f16_e32 v49, v72, v77
	v_sub_nc_u16 v5, v12, v5
	v_mov_b32_e32 v25, 9
	v_add_f16_e32 v69, v69, v78
	v_add_f16_e32 v71, v71, v101
	v_fmac_f16_e32 v67, -0.5, v70
	v_sub_f16_e32 v70, v99, v76
	v_add_f16_e32 v72, v85, v72
	v_fmac_f16_e32 v85, -0.5, v49
	v_sub_f16_e32 v49, v73, v102
	ds_write_b16 v7, v64 offset:20
	ds_write_b16 v7, v63 offset:40
	ds_write_b16 v28, v50
	ds_write_b16 v28, v68 offset:20
	ds_write_b16 v28, v65 offset:40
	ds_write_b16 v58, v69
	;; [unrolled: 3-line block ×4, first 2 shown]
	v_mul_u32_u24_sdwa v6, v5, v25 dst_sel:DWORD dst_unused:UNUSED_PAD src0_sel:BYTE_0 src1_sel:DWORD
	v_fmamk_f16 v73, v70, 0x3aee, v67
	v_fmac_f16_e32 v67, 0xbaee, v70
	v_add_f16_e32 v70, v72, v77
	v_fmamk_f16 v72, v49, 0x3aee, v85
	v_fmac_f16_e32 v85, 0xbaee, v49
	v_lshlrev_b32_e32 v28, 2, v6
	v_mul_lo_u16 v6, 0x89, v24
	ds_write_b16 v21, v73 offset:20
	ds_write_b16 v21, v67 offset:40
	ds_write_b16 v22, v70
	ds_write_b16 v22, v72 offset:20
	v_lshlrev_b32_sdwa v5, v2, v5 dst_sel:DWORD dst_unused:UNUSED_PAD src0_sel:DWORD src1_sel:BYTE_0
	ds_write_b16 v22, v85 offset:40
	s_waitcnt lgkmcnt(0)
	s_barrier
	buffer_gl0_inv
	s_clause 0x1
	global_load_dwordx4 v[57:60], v28, s[12:13] offset:80
	global_load_dwordx4 v[63:66], v28, s[12:13] offset:96
	v_lshrrev_b16 v6, 12, v6
	v_mul_lo_u16 v7, v6, 30
	v_sub_nc_u16 v7, v13, v7
	v_mul_u32_u24_sdwa v21, v7, v25 dst_sel:DWORD dst_unused:UNUSED_PAD src0_sel:BYTE_0 src1_sel:DWORD
	v_lshlrev_b32_sdwa v7, v2, v7 dst_sel:DWORD dst_unused:UNUSED_PAD src0_sel:DWORD src1_sel:BYTE_0
	v_lshlrev_b32_e32 v24, 2, v21
	v_mov_b32_e32 v21, 0x8889
	s_clause 0x1
	global_load_dwordx4 v[67:70], v24, s[12:13] offset:80
	global_load_dwordx4 v[72:75], v24, s[12:13] offset:96
	v_mul_u32_u24_sdwa v21, v14, v21 dst_sel:DWORD dst_unused:UNUSED_PAD src0_sel:WORD_0 src1_sel:DWORD
	v_lshrrev_b32_e32 v21, 20, v21
	v_mul_lo_u16 v22, v21, 30
	v_sub_nc_u16 v22, v14, v22
	v_mul_u32_u24_sdwa v25, v22, v25 dst_sel:DWORD dst_unused:UNUSED_PAD src0_sel:WORD_0 src1_sel:DWORD
	v_lshlrev_b32_sdwa v2, v2, v22 dst_sel:DWORD dst_unused:UNUSED_PAD src0_sel:DWORD src1_sel:WORD_0
	v_lshlrev_b32_e32 v25, 2, v25
	s_clause 0x4
	global_load_dwordx4 v[76:79], v25, s[12:13] offset:80
	global_load_dwordx4 v[80:83], v25, s[12:13] offset:96
	global_load_dword v62, v28, s[12:13] offset:112
	global_load_dword v84, v24, s[12:13] offset:112
	;; [unrolled: 1-line block ×3, first 2 shown]
	ds_read_u16 v25, v18
	ds_read_u16 v49, v19
	;; [unrolled: 1-line block ×3, first 2 shown]
	ds_read_u16 v51, v17 offset:2400
	ds_read_u16 v71, v17 offset:3000
	;; [unrolled: 1-line block ×5, first 2 shown]
	ds_read_u16 v28, v0
	ds_read_u16 v24, v1
	ds_read_u16 v89, v17 offset:5800
	ds_read_u16 v90, v17 offset:2200
	;; [unrolled: 1-line block ×3, first 2 shown]
	s_waitcnt vmcnt(8) lgkmcnt(12)
	v_mul_f16_sdwa v54, v25, v57 dst_sel:DWORD dst_unused:UNUSED_PAD src0_sel:DWORD src1_sel:WORD_1
	v_mul_f16_sdwa v91, v55, v57 dst_sel:DWORD dst_unused:UNUSED_PAD src0_sel:DWORD src1_sel:WORD_1
	s_waitcnt lgkmcnt(11)
	v_mul_f16_sdwa v94, v49, v58 dst_sel:DWORD dst_unused:UNUSED_PAD src0_sel:DWORD src1_sel:WORD_1
	v_mul_f16_sdwa v95, v93, v58 dst_sel:DWORD dst_unused:UNUSED_PAD src0_sel:DWORD src1_sel:WORD_1
	s_waitcnt vmcnt(7)
	v_mul_f16_sdwa v102, v52, v64 dst_sel:DWORD dst_unused:UNUSED_PAD src0_sel:DWORD src1_sel:WORD_1
	v_fmac_f16_e32 v54, v55, v57
	v_fma_f16 v55, v25, v57, -v91
	v_fmac_f16_e32 v94, v93, v58
	ds_read_u16 v91, v17 offset:3800
	ds_read_u16 v93, v17 offset:3600
	s_waitcnt lgkmcnt(12)
	v_mul_f16_sdwa v57, v50, v59 dst_sel:DWORD dst_unused:UNUSED_PAD src0_sel:DWORD src1_sel:WORD_1
	v_mul_f16_sdwa v25, v61, v59 dst_sel:DWORD dst_unused:UNUSED_PAD src0_sel:DWORD src1_sel:WORD_1
	v_fma_f16 v58, v49, v58, -v95
	s_waitcnt lgkmcnt(11)
	v_mul_f16_sdwa v95, v51, v60 dst_sel:DWORD dst_unused:UNUSED_PAD src0_sel:DWORD src1_sel:WORD_1
	v_mul_f16_sdwa v49, v56, v60 dst_sel:DWORD dst_unused:UNUSED_PAD src0_sel:DWORD src1_sel:WORD_1
	v_fmac_f16_e32 v57, v61, v59
	v_fma_f16 v59, v50, v59, -v25
	ds_read_u16 v50, v17 offset:3400
	v_fmac_f16_e32 v95, v56, v60
	ds_read_u16 v56, v17 offset:2800
	ds_read_u16 v25, v17 offset:4800
	;; [unrolled: 1-line block ×3, first 2 shown]
	s_waitcnt lgkmcnt(14)
	v_mul_f16_sdwa v61, v71, v63 dst_sel:DWORD dst_unused:UNUSED_PAD src0_sel:DWORD src1_sel:WORD_1
	v_fma_f16 v60, v51, v60, -v49
	v_mul_f16_sdwa v49, v53, v63 dst_sel:DWORD dst_unused:UNUSED_PAD src0_sel:DWORD src1_sel:WORD_1
	ds_read_u16 v51, v17 offset:5000
	ds_read_u16 v97, v17 offset:5200
	;; [unrolled: 1-line block ×6, first 2 shown]
	v_fmac_f16_e32 v61, v53, v63
	ds_read_u16 v53, v17 offset:1400
	v_fma_f16 v63, v71, v63, -v49
	s_waitcnt lgkmcnt(11)
	v_mul_f16_sdwa v101, v93, v64 dst_sel:DWORD dst_unused:UNUSED_PAD src0_sel:DWORD src1_sel:WORD_1
	v_mul_f16_sdwa v104, v87, v65 dst_sel:DWORD dst_unused:UNUSED_PAD src0_sel:DWORD src1_sel:WORD_1
	;; [unrolled: 1-line block ×4, first 2 shown]
	s_waitcnt vmcnt(5)
	v_mul_f16_sdwa v109, v91, v73 dst_sel:DWORD dst_unused:UNUSED_PAD src0_sel:DWORD src1_sel:WORD_1
	v_fmac_f16_e32 v101, v52, v64
	v_fma_f16 v52, v93, v64, -v102
	ds_read_u16 v102, v17 offset:2600
	ds_read_u16 v105, v17 offset:1600
	;; [unrolled: 1-line block ×3, first 2 shown]
	ds_read_u16 v107, v17
	v_fmac_f16_e32 v104, v43, v65
	s_waitcnt lgkmcnt(12)
	v_mul_f16_sdwa v93, v25, v66 dst_sel:DWORD dst_unused:UNUSED_PAD src0_sel:DWORD src1_sel:WORD_1
	s_waitcnt lgkmcnt(11)
	v_mul_f16_sdwa v64, v96, v67 dst_sel:DWORD dst_unused:UNUSED_PAD src0_sel:DWORD src1_sel:WORD_1
	v_fma_f16 v43, v87, v65, -v49
	v_fma_f16 v87, v25, v66, -v71
	v_mul_f16_sdwa v25, v41, v67 dst_sel:DWORD dst_unused:UNUSED_PAD src0_sel:DWORD src1_sel:WORD_1
	v_fmac_f16_e32 v93, v48, v66
	v_fmac_f16_e32 v64, v41, v67
	v_mul_f16_sdwa v41, v46, v68 dst_sel:DWORD dst_unused:UNUSED_PAD src0_sel:DWORD src1_sel:WORD_1
	v_mul_f16_sdwa v48, v44, v69 dst_sel:DWORD dst_unused:UNUSED_PAD src0_sel:DWORD src1_sel:WORD_1
	v_fma_f16 v65, v96, v67, -v25
	v_mul_f16_sdwa v25, v35, v70 dst_sel:DWORD dst_unused:UNUSED_PAD src0_sel:DWORD src1_sel:WORD_1
	s_waitcnt lgkmcnt(5)
	v_mul_f16_sdwa v71, v103, v69 dst_sel:DWORD dst_unused:UNUSED_PAD src0_sel:DWORD src1_sel:WORD_1
	s_waitcnt lgkmcnt(4)
	v_fma_f16 v96, v53, v68, -v41
	v_fma_f16 v66, v103, v69, -v48
	v_mul_f16_sdwa v41, v45, v72 dst_sel:DWORD dst_unused:UNUSED_PAD src0_sel:DWORD src1_sel:WORD_1
	v_mul_f16_sdwa v108, v53, v68 dst_sel:DWORD dst_unused:UNUSED_PAD src0_sel:DWORD src1_sel:WORD_1
	v_fmac_f16_e32 v71, v44, v69
	s_waitcnt lgkmcnt(3)
	v_mul_f16_sdwa v103, v102, v70 dst_sel:DWORD dst_unused:UNUSED_PAD src0_sel:DWORD src1_sel:WORD_1
	v_fma_f16 v102, v102, v70, -v25
	v_mul_f16_sdwa v25, v42, v73 dst_sel:DWORD dst_unused:UNUSED_PAD src0_sel:DWORD src1_sel:WORD_1
	v_mul_f16_sdwa v69, v86, v72 dst_sel:DWORD dst_unused:UNUSED_PAD src0_sel:DWORD src1_sel:WORD_1
	v_fma_f16 v67, v86, v72, -v41
	v_fmac_f16_e32 v103, v35, v70
	v_mul_f16_sdwa v70, v88, v74 dst_sel:DWORD dst_unused:UNUSED_PAD src0_sel:DWORD src1_sel:WORD_1
	v_mul_f16_sdwa v35, v27, v74 dst_sel:DWORD dst_unused:UNUSED_PAD src0_sel:DWORD src1_sel:WORD_1
	;; [unrolled: 1-line block ×4, first 2 shown]
	v_fma_f16 v91, v91, v73, -v25
	s_waitcnt vmcnt(4) lgkmcnt(1)
	v_mul_f16_sdwa v25, v106, v76 dst_sel:DWORD dst_unused:UNUSED_PAD src0_sel:DWORD src1_sel:WORD_1
	v_fmac_f16_e32 v108, v46, v68
	v_fmac_f16_e32 v70, v27, v74
	v_fma_f16 v68, v88, v74, -v35
	v_fmac_f16_e32 v86, v47, v75
	v_fma_f16 v74, v51, v75, -v41
	v_mul_f16_sdwa v27, v38, v76 dst_sel:DWORD dst_unused:UNUSED_PAD src0_sel:DWORD src1_sel:WORD_1
	v_mul_f16_sdwa v47, v105, v77 dst_sel:DWORD dst_unused:UNUSED_PAD src0_sel:DWORD src1_sel:WORD_1
	;; [unrolled: 1-line block ×3, first 2 shown]
	v_fmac_f16_e32 v25, v38, v76
	v_mul_f16_sdwa v38, v34, v79 dst_sel:DWORD dst_unused:UNUSED_PAD src0_sel:DWORD src1_sel:WORD_1
	v_fmac_f16_e32 v69, v45, v72
	v_fmac_f16_e32 v47, v32, v77
	v_fma_f16 v45, v105, v77, -v41
	v_mul_f16_sdwa v49, v56, v79 dst_sel:DWORD dst_unused:UNUSED_PAD src0_sel:DWORD src1_sel:WORD_1
	s_waitcnt vmcnt(3)
	v_mul_f16_sdwa v32, v50, v80 dst_sel:DWORD dst_unused:UNUSED_PAD src0_sel:DWORD src1_sel:WORD_1
	v_mul_f16_sdwa v41, v30, v80 dst_sel:DWORD dst_unused:UNUSED_PAD src0_sel:DWORD src1_sel:WORD_1
	v_fma_f16 v46, v56, v79, -v38
	v_mul_f16_sdwa v38, v31, v81 dst_sel:DWORD dst_unused:UNUSED_PAD src0_sel:DWORD src1_sel:WORD_1
	v_mul_f16_sdwa v53, v97, v83 dst_sel:DWORD dst_unused:UNUSED_PAD src0_sel:DWORD src1_sel:WORD_1
	v_fmac_f16_e32 v49, v34, v79
	v_fmac_f16_e32 v32, v30, v80
	v_fma_f16 v30, v50, v80, -v41
	v_mul_f16_sdwa v51, v92, v81 dst_sel:DWORD dst_unused:UNUSED_PAD src0_sel:DWORD src1_sel:WORD_1
	v_mul_f16_sdwa v34, v100, v82 dst_sel:DWORD dst_unused:UNUSED_PAD src0_sel:DWORD src1_sel:WORD_1
	;; [unrolled: 1-line block ×3, first 2 shown]
	v_fma_f16 v48, v92, v81, -v38
	v_fmac_f16_e32 v53, v39, v83
	v_mul_f16_sdwa v38, v39, v83 dst_sel:DWORD dst_unused:UNUSED_PAD src0_sel:DWORD src1_sel:WORD_1
	s_waitcnt vmcnt(2)
	v_mul_f16_sdwa v39, v99, v62 dst_sel:DWORD dst_unused:UNUSED_PAD src0_sel:DWORD src1_sel:WORD_1
	v_fmac_f16_e32 v109, v42, v73
	v_fmac_f16_e32 v51, v31, v81
	;; [unrolled: 1-line block ×3, first 2 shown]
	v_fma_f16 v31, v100, v82, -v41
	v_mul_f16_sdwa v40, v36, v62 dst_sel:DWORD dst_unused:UNUSED_PAD src0_sel:DWORD src1_sel:WORD_1
	s_waitcnt vmcnt(1)
	v_mul_f16_sdwa v73, v98, v84 dst_sel:DWORD dst_unused:UNUSED_PAD src0_sel:DWORD src1_sel:WORD_1
	v_mul_f16_sdwa v41, v33, v84 dst_sel:DWORD dst_unused:UNUSED_PAD src0_sel:DWORD src1_sel:WORD_1
	v_fmac_f16_e32 v39, v36, v62
	s_waitcnt vmcnt(0)
	v_mul_f16_sdwa v36, v89, v85 dst_sel:DWORD dst_unused:UNUSED_PAD src0_sel:DWORD src1_sel:WORD_1
	v_fma_f16 v50, v97, v83, -v38
	v_fma_f16 v38, v99, v62, -v40
	v_fmac_f16_e32 v73, v33, v84
	v_add_f16_e32 v33, v95, v101
	v_fma_f16 v72, v98, v84, -v41
	v_mul_f16_sdwa v40, v37, v85 dst_sel:DWORD dst_unused:UNUSED_PAD src0_sel:DWORD src1_sel:WORD_1
	v_sub_f16_e32 v41, v94, v95
	v_sub_f16_e32 v56, v93, v101
	v_fmac_f16_e32 v36, v37, v85
	v_add_f16_e32 v37, v94, v93
	v_fma_f16 v42, -0.5, v33, v26
	v_sub_f16_e32 v44, v58, v87
	v_sub_f16_e32 v62, v60, v52
	v_add_f16_e32 v41, v41, v56
	v_add_f16_e32 v56, v26, v94
	v_fmac_f16_e32 v26, -0.5, v37
	v_mul_f16_sdwa v35, v90, v78 dst_sel:DWORD dst_unused:UNUSED_PAD src0_sel:DWORD src1_sel:WORD_1
	v_fma_f16 v27, v106, v76, -v27
	v_fma_f16 v33, v89, v85, -v40
	v_fmamk_f16 v40, v44, 0xbb9c, v42
	v_fmac_f16_e32 v42, 0x3b9c, v44
	v_sub_f16_e32 v37, v95, v94
	v_sub_f16_e32 v75, v101, v93
	v_fmamk_f16 v76, v62, 0x3b9c, v26
	v_fmac_f16_e32 v26, 0xbb9c, v62
	v_add_f16_e32 v56, v56, v95
	v_fmac_f16_e32 v35, v29, v78
	v_mul_f16_sdwa v29, v29, v78 dst_sel:DWORD dst_unused:UNUSED_PAD src0_sel:DWORD src1_sel:WORD_1
	v_fmac_f16_e32 v40, 0xb8b4, v62
	v_fmac_f16_e32 v42, 0x38b4, v62
	v_add_f16_e32 v37, v37, v75
	v_fmac_f16_e32 v76, 0xb8b4, v44
	v_fmac_f16_e32 v26, 0x38b4, v44
	v_add_f16_e32 v44, v56, v101
	v_fma_f16 v29, v90, v78, -v29
	v_fmac_f16_e32 v40, 0x34f2, v41
	v_fmac_f16_e32 v42, 0x34f2, v41
	v_fmac_f16_e32 v76, 0x34f2, v37
	v_fmac_f16_e32 v26, 0x34f2, v37
	v_add_f16_e32 v37, v44, v93
	s_waitcnt lgkmcnt(0)
	v_add_f16_e32 v41, v107, v58
	v_add_f16_e32 v44, v60, v52
	;; [unrolled: 1-line block ×3, first 2 shown]
	v_sub_f16_e32 v56, v94, v93
	v_sub_f16_e32 v62, v58, v60
	;; [unrolled: 1-line block ×3, first 2 shown]
	v_add_f16_e32 v41, v41, v60
	v_fma_f16 v77, -0.5, v44, v107
	v_sub_f16_e32 v44, v95, v101
	v_fmac_f16_e32 v107, -0.5, v78
	v_add_f16_e32 v62, v62, v75
	v_add_f16_e32 v41, v41, v52
	v_fmamk_f16 v75, v56, 0x3b9c, v77
	v_fmac_f16_e32 v77, 0xbb9c, v56
	v_sub_f16_e32 v58, v60, v58
	v_sub_f16_e32 v52, v52, v87
	v_fmamk_f16 v78, v44, 0xbb9c, v107
	v_fmac_f16_e32 v107, 0x3b9c, v44
	v_fmac_f16_e32 v75, 0x38b4, v44
	;; [unrolled: 1-line block ×3, first 2 shown]
	v_add_f16_e32 v44, v61, v104
	v_add_f16_e32 v52, v58, v52
	v_fmac_f16_e32 v78, 0x38b4, v56
	v_sub_f16_e32 v58, v57, v61
	v_sub_f16_e32 v60, v39, v104
	v_fmac_f16_e32 v107, 0xb8b4, v56
	v_add_f16_e32 v56, v57, v39
	v_fma_f16 v44, -0.5, v44, v54
	v_sub_f16_e32 v80, v63, v43
	v_add_f16_e32 v58, v58, v60
	v_add_f16_e32 v60, v54, v57
	v_fmac_f16_e32 v54, -0.5, v56
	v_fmac_f16_e32 v75, 0x34f2, v62
	v_fmac_f16_e32 v77, 0x34f2, v62
	v_sub_f16_e32 v62, v59, v38
	v_sub_f16_e32 v56, v61, v57
	;; [unrolled: 1-line block ×3, first 2 shown]
	v_fmamk_f16 v82, v80, 0x3b9c, v54
	v_fmac_f16_e32 v54, 0xbb9c, v80
	v_add_f16_e32 v60, v60, v61
	v_fmamk_f16 v79, v62, 0xbb9c, v44
	v_add_f16_e32 v56, v56, v81
	v_fmac_f16_e32 v82, 0xb8b4, v62
	v_fmac_f16_e32 v54, 0x38b4, v62
	;; [unrolled: 1-line block ×5, first 2 shown]
	v_add_f16_e32 v52, v60, v104
	v_fmac_f16_e32 v82, 0x34f2, v56
	v_fmac_f16_e32 v54, 0x34f2, v56
	v_add_f16_e32 v56, v63, v43
	v_fmac_f16_e32 v79, 0xb8b4, v80
	v_fmac_f16_e32 v44, 0x38b4, v80
	v_add_f16_e32 v52, v52, v39
	v_sub_f16_e32 v39, v57, v39
	v_add_f16_e32 v60, v59, v38
	v_fma_f16 v56, -0.5, v56, v55
	v_fmac_f16_e32 v79, 0x34f2, v58
	v_fmac_f16_e32 v44, 0x34f2, v58
	v_sub_f16_e32 v57, v59, v63
	v_sub_f16_e32 v58, v38, v43
	v_add_f16_e32 v62, v55, v59
	v_sub_f16_e32 v61, v61, v104
	v_fmac_f16_e32 v55, -0.5, v60
	v_fmamk_f16 v60, v39, 0x3b9c, v56
	v_add_f16_e32 v57, v57, v58
	v_add_f16_e32 v58, v62, v63
	v_sub_f16_e32 v59, v63, v59
	v_sub_f16_e32 v62, v43, v38
	v_fmamk_f16 v63, v61, 0xbb9c, v55
	v_fmac_f16_e32 v60, 0x38b4, v61
	v_fmac_f16_e32 v56, 0xbb9c, v39
	;; [unrolled: 1-line block ×3, first 2 shown]
	v_add_f16_e32 v43, v58, v43
	v_add_f16_e32 v58, v59, v62
	v_fmac_f16_e32 v63, 0x38b4, v39
	v_fmac_f16_e32 v60, 0x34f2, v57
	;; [unrolled: 1-line block ×4, first 2 shown]
	v_add_f16_e32 v38, v43, v38
	v_fmac_f16_e32 v63, 0x34f2, v58
	v_mul_f16_e32 v39, 0xb8b4, v60
	v_mul_f16_e32 v43, 0x3a79, v60
	v_fmac_f16_e32 v56, 0x34f2, v57
	v_fmac_f16_e32 v55, 0x34f2, v58
	v_add_f16_e32 v41, v41, v87
	v_fmac_f16_e32 v39, 0x3a79, v79
	v_fmac_f16_e32 v43, 0x38b4, v79
	v_mul_f16_e32 v79, 0x34f2, v63
	v_mul_f16_e32 v58, 0xbb9c, v55
	;; [unrolled: 1-line block ×6, first 2 shown]
	v_fmac_f16_e32 v79, 0x3b9c, v82
	v_fmac_f16_e32 v58, 0xb4f2, v54
	;; [unrolled: 1-line block ×6, first 2 shown]
	v_add_f16_e32 v62, v37, v52
	v_sub_f16_e32 v55, v37, v52
	v_add_f16_e32 v63, v40, v39
	v_sub_f16_e32 v56, v40, v39
	;; [unrolled: 2-line block ×5, first 2 shown]
	v_add_f16_e32 v41, v78, v79
	v_add_f16_e32 v44, v103, v109
	v_sub_f16_e32 v42, v78, v79
	v_sub_f16_e32 v52, v108, v103
	;; [unrolled: 1-line block ×3, first 2 shown]
	v_add_f16_e32 v78, v108, v86
	v_add_f16_e32 v59, v76, v57
	v_sub_f16_e32 v57, v76, v57
	v_add_f16_e32 v40, v75, v43
	v_sub_f16_e32 v38, v75, v43
	v_fma_f16 v75, -0.5, v44, v23
	v_sub_f16_e32 v76, v96, v74
	v_add_f16_e32 v79, v52, v54
	v_add_f16_e32 v52, v23, v108
	v_sub_f16_e32 v54, v102, v91
	v_fmac_f16_e32 v23, -0.5, v78
	v_add_f16_e32 v43, v107, v80
	v_sub_f16_e32 v44, v107, v80
	v_fmamk_f16 v80, v76, 0xbb9c, v75
	v_fmac_f16_e32 v75, 0x3b9c, v76
	v_sub_f16_e32 v78, v103, v108
	v_sub_f16_e32 v81, v109, v86
	v_fmamk_f16 v82, v54, 0x3b9c, v23
	v_fmac_f16_e32 v23, 0xbb9c, v54
	v_fmac_f16_e32 v80, 0xb8b4, v54
	;; [unrolled: 1-line block ×3, first 2 shown]
	v_add_f16_e32 v78, v78, v81
	v_add_f16_e32 v81, v52, v103
	v_fmac_f16_e32 v82, 0xb8b4, v76
	v_fmac_f16_e32 v23, 0x38b4, v76
	v_add_f16_e32 v54, v77, v83
	v_sub_f16_e32 v52, v77, v83
	v_add_f16_e32 v77, v28, v96
	v_fmac_f16_e32 v82, 0x34f2, v78
	v_fmac_f16_e32 v23, 0x34f2, v78
	v_add_f16_e32 v78, v102, v91
	v_add_f16_e32 v76, v81, v109
	;; [unrolled: 1-line block ×3, first 2 shown]
	v_fmac_f16_e32 v80, 0x34f2, v79
	v_fmac_f16_e32 v75, 0x34f2, v79
	v_sub_f16_e32 v79, v108, v86
	v_sub_f16_e32 v81, v96, v102
	;; [unrolled: 1-line block ×3, first 2 shown]
	v_fma_f16 v78, -0.5, v78, v28
	v_add_f16_e32 v85, v96, v74
	v_add_f16_e32 v77, v77, v91
	v_sub_f16_e32 v84, v103, v109
	v_add_f16_e32 v81, v81, v83
	v_fmamk_f16 v83, v79, 0x3b9c, v78
	v_fmac_f16_e32 v78, 0xbb9c, v79
	v_fmac_f16_e32 v28, -0.5, v85
	v_sub_f16_e32 v85, v102, v96
	v_add_f16_e32 v77, v77, v74
	v_sub_f16_e32 v74, v91, v74
	v_add_f16_e32 v76, v76, v86
	v_fmac_f16_e32 v83, 0x38b4, v84
	v_fmac_f16_e32 v78, 0xb8b4, v84
	v_fmamk_f16 v86, v84, 0xbb9c, v28
	v_fmac_f16_e32 v28, 0x3b9c, v84
	v_add_f16_e32 v74, v85, v74
	v_sub_f16_e32 v84, v71, v69
	v_sub_f16_e32 v85, v73, v70
	v_fmac_f16_e32 v83, 0x34f2, v81
	v_fmac_f16_e32 v78, 0x34f2, v81
	v_add_f16_e32 v81, v69, v70
	v_fmac_f16_e32 v86, 0x38b4, v79
	v_fmac_f16_e32 v28, 0xb8b4, v79
	v_add_f16_e32 v79, v71, v73
	v_add_f16_e32 v84, v84, v85
	v_add_f16_e32 v85, v64, v71
	v_fma_f16 v81, -0.5, v81, v64
	v_sub_f16_e32 v87, v66, v72
	v_sub_f16_e32 v89, v67, v68
	v_fmac_f16_e32 v64, -0.5, v79
	v_add_f16_e32 v85, v85, v69
	v_sub_f16_e32 v79, v69, v71
	v_fmamk_f16 v88, v87, 0xbb9c, v81
	v_fmac_f16_e32 v81, 0x3b9c, v87
	v_sub_f16_e32 v90, v70, v73
	v_fmamk_f16 v91, v89, 0x3b9c, v64
	v_fmac_f16_e32 v64, 0xbb9c, v89
	v_fmac_f16_e32 v86, 0x34f2, v74
	;; [unrolled: 1-line block ×3, first 2 shown]
	v_add_f16_e32 v74, v85, v70
	v_fmac_f16_e32 v88, 0xb8b4, v89
	v_fmac_f16_e32 v81, 0x38b4, v89
	v_add_f16_e32 v79, v79, v90
	v_fmac_f16_e32 v91, 0xb8b4, v87
	v_fmac_f16_e32 v64, 0x38b4, v87
	v_add_f16_e32 v74, v74, v73
	v_sub_f16_e32 v71, v71, v73
	v_add_f16_e32 v73, v67, v68
	v_add_f16_e32 v85, v66, v72
	v_fmac_f16_e32 v88, 0x34f2, v84
	v_fmac_f16_e32 v81, 0x34f2, v84
	;; [unrolled: 1-line block ×4, first 2 shown]
	v_sub_f16_e32 v79, v66, v67
	v_sub_f16_e32 v84, v72, v68
	v_add_f16_e32 v87, v65, v66
	v_fma_f16 v73, -0.5, v73, v65
	v_sub_f16_e32 v69, v69, v70
	v_fmac_f16_e32 v65, -0.5, v85
	v_add_f16_e32 v70, v79, v84
	v_add_f16_e32 v79, v87, v67
	v_fmamk_f16 v84, v71, 0x3b9c, v73
	v_sub_f16_e32 v66, v67, v66
	v_sub_f16_e32 v67, v68, v72
	v_fmamk_f16 v85, v69, 0xbb9c, v65
	v_fmac_f16_e32 v73, 0xbb9c, v71
	v_fmac_f16_e32 v65, 0x3b9c, v69
	;; [unrolled: 1-line block ×3, first 2 shown]
	v_add_f16_e32 v66, v66, v67
	v_fmac_f16_e32 v85, 0x38b4, v71
	v_fmac_f16_e32 v73, 0xb8b4, v69
	;; [unrolled: 1-line block ×3, first 2 shown]
	v_add_f16_e32 v68, v79, v68
	v_fmac_f16_e32 v84, 0x34f2, v70
	v_fmac_f16_e32 v85, 0x34f2, v66
	v_fmac_f16_e32 v73, 0x34f2, v70
	v_fmac_f16_e32 v65, 0x34f2, v66
	v_add_f16_e32 v67, v68, v72
	v_mul_f16_e32 v69, 0x3a79, v84
	v_mul_f16_e32 v70, 0xbb9c, v85
	;; [unrolled: 1-line block ×6, first 2 shown]
	v_fmac_f16_e32 v69, 0x38b4, v88
	v_fmac_f16_e32 v70, 0x34f2, v91
	v_mul_f16_e32 v73, 0xba79, v73
	v_fmac_f16_e32 v66, 0xb4f2, v64
	v_fmac_f16_e32 v72, 0x3b9c, v64
	v_fmac_f16_e32 v65, 0xba79, v81
	v_mul_f16_e32 v71, 0x34f2, v85
	v_fmac_f16_e32 v73, 0x38b4, v81
	v_add_f16_e32 v81, v82, v70
	v_sub_f16_e32 v70, v82, v70
	v_add_f16_e32 v82, v23, v66
	v_sub_f16_e32 v23, v23, v66
	;; [unrolled: 2-line block ×5, first 2 shown]
	v_add_f16_e32 v69, v49, v51
	v_add_f16_e32 v77, v28, v72
	v_sub_f16_e32 v83, v47, v49
	v_sub_f16_e32 v85, v53, v51
	v_sub_f16_e32 v72, v28, v72
	v_add_f16_e32 v28, v47, v53
	v_fmac_f16_e32 v68, 0x3a79, v88
	v_fmac_f16_e32 v71, 0x3b9c, v91
	v_fma_f16 v69, -0.5, v69, v3
	v_add_f16_e32 v83, v83, v85
	v_add_f16_e32 v85, v3, v47
	v_sub_f16_e32 v88, v46, v48
	v_fmac_f16_e32 v3, -0.5, v28
	v_add_f16_e32 v79, v76, v74
	v_sub_f16_e32 v74, v76, v74
	v_add_f16_e32 v76, v80, v68
	v_sub_f16_e32 v80, v80, v68
	;; [unrolled: 2-line block ×3, first 2 shown]
	v_sub_f16_e32 v86, v45, v50
	v_sub_f16_e32 v28, v49, v47
	;; [unrolled: 1-line block ×3, first 2 shown]
	v_fmamk_f16 v90, v88, 0x3b9c, v3
	v_fmac_f16_e32 v3, 0xbb9c, v88
	v_add_f16_e32 v85, v85, v49
	v_fmamk_f16 v87, v86, 0xbb9c, v69
	v_fmac_f16_e32 v69, 0x3b9c, v86
	v_add_f16_e32 v28, v28, v89
	v_fmac_f16_e32 v90, 0xb8b4, v86
	v_fmac_f16_e32 v3, 0x38b4, v86
	v_add_f16_e32 v86, v78, v73
	v_sub_f16_e32 v73, v78, v73
	v_add_f16_e32 v78, v85, v51
	v_fmac_f16_e32 v87, 0xb8b4, v88
	v_fmac_f16_e32 v69, 0x38b4, v88
	;; [unrolled: 1-line block ×4, first 2 shown]
	v_add_f16_e32 v28, v78, v53
	v_add_f16_e32 v78, v24, v45
	v_fmac_f16_e32 v87, 0x34f2, v83
	v_fmac_f16_e32 v69, 0x34f2, v83
	v_add_f16_e32 v83, v46, v48
	v_sub_f16_e32 v49, v49, v51
	v_add_f16_e32 v78, v78, v46
	v_add_f16_e32 v51, v45, v50
	v_sub_f16_e32 v47, v47, v53
	v_sub_f16_e32 v53, v45, v46
	;; [unrolled: 1-line block ×3, first 2 shown]
	v_fma_f16 v83, -0.5, v83, v24
	v_add_f16_e32 v78, v78, v48
	v_fmac_f16_e32 v24, -0.5, v51
	v_sub_f16_e32 v45, v46, v45
	v_sub_f16_e32 v48, v48, v50
	v_add_f16_e32 v53, v53, v85
	v_fmamk_f16 v85, v47, 0x3b9c, v83
	v_fmac_f16_e32 v83, 0xbb9c, v47
	v_add_f16_e32 v46, v78, v50
	v_fmamk_f16 v50, v49, 0xbb9c, v24
	v_fmac_f16_e32 v24, 0x3b9c, v49
	v_add_f16_e32 v45, v45, v48
	v_sub_f16_e32 v48, v35, v32
	v_sub_f16_e32 v51, v36, v34
	v_fmac_f16_e32 v85, 0x38b4, v49
	v_fmac_f16_e32 v83, 0xb8b4, v49
	v_add_f16_e32 v49, v32, v34
	v_fmac_f16_e32 v50, 0x38b4, v47
	v_fmac_f16_e32 v24, 0xb8b4, v47
	v_add_f16_e32 v47, v35, v36
	v_add_f16_e32 v48, v48, v51
	;; [unrolled: 1-line block ×3, first 2 shown]
	v_fmac_f16_e32 v85, 0x34f2, v53
	v_fmac_f16_e32 v83, 0x34f2, v53
	v_fma_f16 v49, -0.5, v49, v25
	v_sub_f16_e32 v53, v29, v33
	v_sub_f16_e32 v88, v30, v31
	v_fmac_f16_e32 v25, -0.5, v47
	v_add_f16_e32 v51, v51, v32
	v_sub_f16_e32 v47, v32, v35
	v_fmamk_f16 v78, v53, 0xbb9c, v49
	v_fmac_f16_e32 v49, 0x3b9c, v53
	v_sub_f16_e32 v89, v34, v36
	v_fmamk_f16 v91, v88, 0x3b9c, v25
	v_fmac_f16_e32 v25, 0xbb9c, v88
	v_fmac_f16_e32 v50, 0x34f2, v45
	;; [unrolled: 1-line block ×3, first 2 shown]
	v_add_f16_e32 v45, v51, v34
	v_fmac_f16_e32 v78, 0xb8b4, v88
	v_fmac_f16_e32 v49, 0x38b4, v88
	v_add_f16_e32 v47, v47, v89
	v_fmac_f16_e32 v91, 0xb8b4, v53
	v_fmac_f16_e32 v25, 0x38b4, v53
	v_add_f16_e32 v45, v45, v36
	v_sub_f16_e32 v35, v35, v36
	v_add_f16_e32 v36, v30, v31
	v_fmac_f16_e32 v78, 0x34f2, v48
	v_fmac_f16_e32 v49, 0x34f2, v48
	;; [unrolled: 1-line block ×4, first 2 shown]
	v_sub_f16_e32 v47, v29, v30
	v_sub_f16_e32 v48, v33, v31
	v_fma_f16 v36, -0.5, v36, v27
	v_add_f16_e32 v51, v29, v33
	v_sub_f16_e32 v32, v32, v34
	v_add_f16_e32 v53, v27, v29
	v_add_f16_e32 v34, v47, v48
	v_fmamk_f16 v48, v35, 0x3b9c, v36
	v_fmac_f16_e32 v36, 0xbb9c, v35
	v_fmac_f16_e32 v27, -0.5, v51
	v_add_f16_e32 v47, v53, v30
	v_sub_f16_e32 v29, v30, v29
	v_sub_f16_e32 v30, v31, v33
	v_fmac_f16_e32 v36, 0xb8b4, v32
	v_fmamk_f16 v51, v32, 0xbb9c, v27
	v_fmac_f16_e32 v27, 0x3b9c, v32
	v_fmac_f16_e32 v48, 0x38b4, v32
	v_add_f16_e32 v29, v29, v30
	v_fmac_f16_e32 v36, 0x34f2, v34
	v_fmac_f16_e32 v51, 0x38b4, v35
	;; [unrolled: 1-line block ×3, first 2 shown]
	v_add_f16_e32 v31, v47, v31
	v_fmac_f16_e32 v48, 0x34f2, v34
	v_mul_f16_e32 v35, 0xb8b4, v36
	v_mul_f16_e32 v36, 0xba79, v36
	v_fmac_f16_e32 v51, 0x34f2, v29
	v_fmac_f16_e32 v27, 0x34f2, v29
	v_add_f16_e32 v30, v31, v33
	v_fmac_f16_e32 v35, 0xba79, v49
	v_fmac_f16_e32 v36, 0x38b4, v49
	v_mov_b32_e32 v49, 0x258
	v_mul_f16_e32 v31, 0xb8b4, v48
	v_mul_f16_e32 v33, 0xbb9c, v51
	;; [unrolled: 1-line block ×4, first 2 shown]
	v_mul_u32_u24_sdwa v6, v6, v49 dst_sel:DWORD dst_unused:UNUSED_PAD src0_sel:WORD_0 src1_sel:DWORD
	v_mul_f16_e32 v29, 0x34f2, v51
	v_mul_f16_e32 v27, 0xb4f2, v27
	v_mul_u32_u24_sdwa v4, v4, v49 dst_sel:DWORD dst_unused:UNUSED_PAD src0_sel:WORD_0 src1_sel:DWORD
	v_fmac_f16_e32 v31, 0x3a79, v78
	v_fmac_f16_e32 v33, 0x34f2, v91
	;; [unrolled: 1-line block ×3, first 2 shown]
	v_add3_u32 v6, 0, v6, v7
	v_mul_u32_u24_e32 v7, 0x258, v21
	v_fmac_f16_e32 v32, 0x38b4, v78
	v_fmac_f16_e32 v29, 0x3b9c, v91
	;; [unrolled: 1-line block ×3, first 2 shown]
	v_add3_u32 v4, 0, v4, v5
	v_add_f16_e32 v25, v28, v45
	v_sub_f16_e32 v28, v28, v45
	v_add_f16_e32 v45, v87, v31
	v_sub_f16_e32 v31, v87, v31
	;; [unrolled: 2-line block ×5, first 2 shown]
	v_add3_u32 v2, 0, v7, v2
	v_add_f16_e32 v69, v46, v30
	v_sub_f16_e32 v78, v46, v30
	v_add_f16_e32 v87, v85, v32
	v_sub_f16_e32 v85, v85, v32
	;; [unrolled: 2-line block ×5, first 2 shown]
	s_barrier
	buffer_gl0_inv
	ds_write_b16 v4, v62
	ds_write_b16 v4, v63 offset:60
	ds_write_b16 v4, v59 offset:120
	ds_write_b16 v4, v60 offset:180
	ds_write_b16 v4, v61 offset:240
	ds_write_b16 v4, v55 offset:300
	ds_write_b16 v4, v56 offset:360
	ds_write_b16 v4, v57 offset:420
	ds_write_b16 v4, v26 offset:480
	ds_write_b16 v4, v58 offset:540
	ds_write_b16 v6, v79
	ds_write_b16 v6, v76 offset:60
	ds_write_b16 v6, v81 offset:120
	ds_write_b16 v6, v82 offset:180
	ds_write_b16 v6, v84 offset:240
	ds_write_b16 v6, v74 offset:300
	ds_write_b16 v6, v80 offset:360
	ds_write_b16 v6, v70 offset:420
	ds_write_b16 v6, v23 offset:480
	ds_write_b16 v6, v75 offset:540
	ds_write_b16 v2, v25
	ds_write_b16 v2, v45 offset:60
	ds_write_b16 v2, v47 offset:120
	ds_write_b16 v2, v48 offset:180
	ds_write_b16 v2, v34 offset:240
	ds_write_b16 v2, v28 offset:300
	ds_write_b16 v2, v31 offset:360
	ds_write_b16 v2, v33 offset:420
	ds_write_b16 v2, v3 offset:480
	ds_write_b16 v2, v35 offset:540
	s_waitcnt lgkmcnt(0)
	s_barrier
	buffer_gl0_inv
	ds_read_u16 v21, v17
	ds_read_u16 v33, v17 offset:800
	ds_read_u16 v35, v17 offset:2600
	;; [unrolled: 1-line block ×4, first 2 shown]
	ds_read_u16 v22, v20
	ds_read_u16 v31, v0
	;; [unrolled: 1-line block ×3, first 2 shown]
	ds_read_u16 v27, v17 offset:2400
	ds_read_u16 v51, v17 offset:2200
	;; [unrolled: 1-line block ×19, first 2 shown]
	ds_read_u16 v30, v19
	ds_read_u16 v25, v18
	ds_read_u16 v60, v17 offset:5800
	s_waitcnt lgkmcnt(0)
	s_barrier
	buffer_gl0_inv
	ds_write_b16 v4, v39
	ds_write_b16 v4, v40 offset:60
	ds_write_b16 v4, v41 offset:120
	ds_write_b16 v4, v43 offset:180
	ds_write_b16 v4, v54 offset:240
	ds_write_b16 v4, v37 offset:300
	ds_write_b16 v4, v38 offset:360
	ds_write_b16 v4, v42 offset:420
	ds_write_b16 v4, v44 offset:480
	ds_write_b16 v4, v52 offset:540
	ds_write_b16 v6, v66
	ds_write_b16 v6, v67 offset:60
	ds_write_b16 v6, v68 offset:120
	ds_write_b16 v6, v77 offset:180
	ds_write_b16 v6, v86 offset:240
	ds_write_b16 v6, v64 offset:300
	ds_write_b16 v6, v65 offset:360
	ds_write_b16 v6, v71 offset:420
	ds_write_b16 v6, v72 offset:480
	ds_write_b16 v6, v73 offset:540
	ds_write_b16 v2, v69
	ds_write_b16 v2, v87 offset:60
	ds_write_b16 v2, v88 offset:120
	ds_write_b16 v2, v90 offset:180
	ds_write_b16 v2, v5 offset:240
	ds_write_b16 v2, v78 offset:300
	ds_write_b16 v2, v85 offset:360
	ds_write_b16 v2, v89 offset:420
	ds_write_b16 v2, v91 offset:480
	ds_write_b16 v2, v83 offset:540
	s_waitcnt lgkmcnt(0)
	s_barrier
	buffer_gl0_inv
	s_and_saveexec_b32 s4, vcc_lo
	s_cbranch_execz .LBB0_15
; %bb.14:
	v_mul_i32_i24_e32 v38, 9, v14
	v_mov_b32_e32 v39, 0
	v_mul_i32_i24_e32 v14, 0xffffffee, v14
	v_mul_u32_u24_e32 v65, 9, v12
	v_mul_lo_u32 v44, s0, v11
	v_lshlrev_b64 v[8:9], 2, v[8:9]
	v_lshlrev_b64 v[0:1], 2, v[38:39]
	v_add_nc_u32_e32 v14, v16, v14
	v_add_co_u32 v37, vcc_lo, s12, v0
	v_add_co_ci_u32_e32 v38, vcc_lo, s13, v1, vcc_lo
	s_clause 0x2
	global_load_dwordx4 v[0:3], v[37:38], off offset:1160
	global_load_dwordx4 v[4:7], v[37:38], off offset:1176
	global_load_dword v37, v[37:38], off offset:1192
	v_mul_i32_i24_e32 v38, 9, v13
	v_mul_i32_i24_e32 v13, 0xffffffee, v13
	v_lshlrev_b64 v[38:39], 2, v[38:39]
	v_add_nc_u32_e32 v13, v15, v13
	v_lshlrev_b32_e32 v15, 2, v65
	v_add_co_u32 v42, vcc_lo, s12, v38
	v_add_co_ci_u32_e32 v43, vcc_lo, s13, v39, vcc_lo
	s_clause 0x2
	global_load_dwordx4 v[38:41], v[42:43], off offset:1160
	global_load_dwordx4 v[61:64], v[42:43], off offset:1176
	global_load_dword v42, v[42:43], off offset:1192
	ds_read_u16 v54, v17 offset:5800
	ds_read_u16 v73, v17 offset:4000
	;; [unrolled: 1-line block ×16, first 2 shown]
	ds_read_u16 v52, v17
	ds_read_u16 v88, v17 offset:5600
	ds_read_u16 v89, v17 offset:5400
	;; [unrolled: 1-line block ×8, first 2 shown]
	ds_read_u16 v96, v20
	ds_read_u16 v97, v19
	;; [unrolled: 1-line block ×5, first 2 shown]
	s_clause 0x2
	global_load_dwordx4 v[65:68], v15, s[12:13] offset:1160
	global_load_dwordx4 v[69:72], v15, s[12:13] offset:1176
	global_load_dword v99, v15, s[12:13] offset:1192
	v_mul_lo_u32 v43, s1, v10
	v_mad_u64_u32 v[10:11], null, s0, v10, 0
	v_add3_u32 v11, v11, v44, v43
	v_lshlrev_b64 v[10:11], 2, v[10:11]
	s_waitcnt vmcnt(8)
	v_mul_f16_sdwa v15, v53, v1 dst_sel:DWORD dst_unused:UNUSED_PAD src0_sel:DWORD src1_sel:WORD_1
	v_mul_f16_sdwa v16, v57, v3 dst_sel:DWORD dst_unused:UNUSED_PAD src0_sel:DWORD src1_sel:WORD_1
	s_waitcnt vmcnt(7)
	v_mul_f16_sdwa v18, v55, v5 dst_sel:DWORD dst_unused:UNUSED_PAD src0_sel:DWORD src1_sel:WORD_1
	s_waitcnt lgkmcnt(17)
	v_mul_f16_sdwa v19, v84, v1 dst_sel:DWORD dst_unused:UNUSED_PAD src0_sel:DWORD src1_sel:WORD_1
	s_waitcnt lgkmcnt(10)
	v_mul_f16_sdwa v20, v90, v7 dst_sel:DWORD dst_unused:UNUSED_PAD src0_sel:DWORD src1_sel:WORD_1
	v_mul_f16_sdwa v43, v79, v3 dst_sel:DWORD dst_unused:UNUSED_PAD src0_sel:DWORD src1_sel:WORD_1
	;; [unrolled: 1-line block ×3, first 2 shown]
	v_mul_f16_sdwa v100, v2, v82 dst_sel:DWORD dst_unused:UNUSED_PAD src0_sel:WORD_1 src1_sel:DWORD
	v_mul_f16_sdwa v101, v4, v76 dst_sel:DWORD dst_unused:UNUSED_PAD src0_sel:WORD_1 src1_sel:DWORD
	s_waitcnt lgkmcnt(7)
	v_mul_f16_sdwa v103, v6, v93 dst_sel:DWORD dst_unused:UNUSED_PAD src0_sel:WORD_1 src1_sel:DWORD
	v_mul_f16_sdwa v104, v0, v86 dst_sel:DWORD dst_unused:UNUSED_PAD src0_sel:WORD_1 src1_sel:DWORD
	v_mul_f16_sdwa v105, v51, v2 dst_sel:DWORD dst_unused:UNUSED_PAD src0_sel:DWORD src1_sel:WORD_1
	s_waitcnt vmcnt(6)
	v_mul_f16_sdwa v106, v60, v37 dst_sel:DWORD dst_unused:UNUSED_PAD src0_sel:DWORD src1_sel:WORD_1
	v_mul_f16_sdwa v107, v56, v4 dst_sel:DWORD dst_unused:UNUSED_PAD src0_sel:DWORD src1_sel:WORD_1
	v_mul_f16_sdwa v108, v58, v6 dst_sel:DWORD dst_unused:UNUSED_PAD src0_sel:DWORD src1_sel:WORD_1
	v_mul_f16_sdwa v17, v59, v7 dst_sel:DWORD dst_unused:UNUSED_PAD src0_sel:DWORD src1_sel:WORD_1
	v_mul_f16_sdwa v102, v37, v54 dst_sel:DWORD dst_unused:UNUSED_PAD src0_sel:WORD_1 src1_sel:DWORD
	v_mul_f16_sdwa v109, v50, v0 dst_sel:DWORD dst_unused:UNUSED_PAD src0_sel:DWORD src1_sel:WORD_1
	v_fma_f16 v15, v1, v84, -v15
	v_fma_f16 v16, v3, v79, -v16
	v_fma_f16 v18, v5, v73, -v18
	v_fmac_f16_e32 v19, v53, v1
	v_fmac_f16_e32 v20, v59, v7
	;; [unrolled: 1-line block ×8, first 2 shown]
	v_fma_f16 v1, v2, v82, -v105
	v_fma_f16 v2, v37, v54, -v106
	;; [unrolled: 1-line block ×4, first 2 shown]
	s_waitcnt vmcnt(5)
	v_mul_f16_sdwa v5, v48, v39 dst_sel:DWORD dst_unused:UNUSED_PAD src0_sel:DWORD src1_sel:WORD_1
	v_mul_f16_sdwa v6, v35, v41 dst_sel:DWORD dst_unused:UNUSED_PAD src0_sel:DWORD src1_sel:WORD_1
	;; [unrolled: 1-line block ×4, first 2 shown]
	s_waitcnt vmcnt(4)
	v_mul_f16_sdwa v54, v74, v62 dst_sel:DWORD dst_unused:UNUSED_PAD src0_sel:DWORD src1_sel:WORD_1
	v_mul_f16_sdwa v55, v40, v83 dst_sel:DWORD dst_unused:UNUSED_PAD src0_sel:WORD_1 src1_sel:DWORD
	v_fma_f16 v17, v7, v90, -v17
	v_fmac_f16_e32 v102, v60, v37
	v_fma_f16 v0, v0, v86, -v109
	v_mul_f16_sdwa v7, v49, v64 dst_sel:DWORD dst_unused:UNUSED_PAD src0_sel:DWORD src1_sel:WORD_1
	v_mul_f16_sdwa v37, v47, v62 dst_sel:DWORD dst_unused:UNUSED_PAD src0_sel:DWORD src1_sel:WORD_1
	v_mul_f16_sdwa v59, v38, v87 dst_sel:DWORD dst_unused:UNUSED_PAD src0_sel:WORD_1 src1_sel:DWORD
	v_mul_f16_sdwa v60, v36, v40 dst_sel:DWORD dst_unused:UNUSED_PAD src0_sel:DWORD src1_sel:WORD_1
	v_mul_f16_sdwa v76, v45, v61 dst_sel:DWORD dst_unused:UNUSED_PAD src0_sel:DWORD src1_sel:WORD_1
	v_add_f16_e32 v113, v3, v4
	v_fma_f16 v5, v39, v85, -v5
	v_add_f16_e32 v85, v1, v2
	v_fma_f16 v6, v41, v80, -v6
	s_waitcnt lgkmcnt(1)
	v_add_f16_e32 v80, v15, v14
	v_fmac_f16_e32 v50, v48, v39
	v_add_f16_e32 v39, v43, v44
	v_fmac_f16_e32 v53, v35, v41
	v_sub_f16_e32 v35, v43, v19
	v_fmac_f16_e32 v54, v47, v62
	v_sub_f16_e32 v41, v44, v20
	v_fmac_f16_e32 v55, v36, v40
	v_add_f16_e32 v36, v19, v20
	v_add_f16_e32 v47, v100, v104
	v_mul_f16_sdwa v51, v91, v64 dst_sel:DWORD dst_unused:UNUSED_PAD src0_sel:DWORD src1_sel:WORD_1
	v_mul_f16_sdwa v56, v61, v77 dst_sel:DWORD dst_unused:UNUSED_PAD src0_sel:WORD_1 src1_sel:DWORD
	s_waitcnt vmcnt(3)
	v_mul_f16_sdwa v57, v42, v88 dst_sel:DWORD dst_unused:UNUSED_PAD src0_sel:WORD_1 src1_sel:DWORD
	v_mul_f16_sdwa v58, v63, v94 dst_sel:DWORD dst_unused:UNUSED_PAD src0_sel:WORD_1 src1_sel:DWORD
	v_mul_f16_sdwa v73, v46, v42 dst_sel:DWORD dst_unused:UNUSED_PAD src0_sel:DWORD src1_sel:WORD_1
	v_mul_f16_sdwa v79, v34, v63 dst_sel:DWORD dst_unused:UNUSED_PAD src0_sel:DWORD src1_sel:WORD_1
	;; [unrolled: 1-line block ×3, first 2 shown]
	v_sub_f16_e32 v84, v15, v16
	v_add_f16_e32 v90, v16, v18
	v_sub_f16_e32 v93, v19, v20
	v_add_f16_e32 v108, v101, v103
	v_sub_f16_e32 v109, v1, v2
	v_sub_f16_e32 v111, v1, v3
	;; [unrolled: 1-line block ×5, first 2 shown]
	v_add_f16_e32 v121, v100, v102
	v_sub_f16_e32 v122, v3, v1
	v_add_f16_e32 v1, v1, v0
	v_fma_f16 v7, v64, v91, -v7
	v_sub_f16_e32 v91, v19, v43
	v_fma_f16 v37, v62, v74, -v37
	v_sub_f16_e32 v48, v16, v18
	v_add_f16_e32 v19, v32, v19
	v_fmac_f16_e32 v59, v33, v38
	v_fma_f16 v33, v40, v83, -v60
	v_fma_f16 v40, v61, v77, -v76
	v_fma_f16 v62, -0.5, v113, v0
	v_fma_f16 v77, -0.5, v85, v0
	v_add_f16_e32 v0, v16, v80
	v_fma_f16 v39, -0.5, v39, v32
	v_add_f16_e32 v16, v35, v41
	;; [unrolled: 2-line block ×3, first 2 shown]
	v_sub_f16_e32 v86, v17, v18
	v_sub_f16_e32 v106, v100, v101
	;; [unrolled: 1-line block ×6, first 2 shown]
	v_add_f16_e32 v118, v15, v17
	v_sub_f16_e32 v123, v4, v2
	v_sub_f16_e32 v74, v20, v44
	v_fmac_f16_e32 v56, v45, v61
	v_fmac_f16_e32 v57, v46, v42
	;; [unrolled: 1-line block ×3, first 2 shown]
	v_fma_f16 v34, v42, v88, -v73
	v_fma_f16 v42, v63, v94, -v79
	;; [unrolled: 1-line block ×3, first 2 shown]
	v_fma_f16 v60, -0.5, v108, v104
	v_fma_f16 v73, -0.5, v121, v104
	v_add_f16_e32 v1, v3, v1
	v_add_f16_e32 v19, v19, v43
	v_add_f16_e32 v0, v18, v0
	v_fmamk_f16 v124, v114, 0xbb9c, v62
	v_add_f16_e32 v18, v103, v32
	v_fmamk_f16 v32, v115, 0x3b9c, v77
	v_fmac_f16_e32 v77, 0xbb9c, v115
	v_fmac_f16_e32 v62, 0x3b9c, v114
	v_sub_f16_e32 v105, v43, v44
	v_sub_f16_e32 v119, v101, v100
	;; [unrolled: 1-line block ×4, first 2 shown]
	v_fmac_f16_e32 v51, v49, v64
	v_add_f16_e32 v45, v84, v86
	v_fma_f16 v46, -0.5, v90, v14
	v_add_f16_e32 v49, v106, v107
	v_add_f16_e32 v61, v111, v112
	v_fma_f16 v64, -0.5, v118, v14
	v_add_f16_e32 v76, v122, v123
	v_add_f16_e32 v3, v91, v74
	v_sub_f16_e32 v36, v5, v6
	v_sub_f16_e32 v41, v7, v37
	v_add_f16_e32 v43, v6, v37
	v_sub_f16_e32 v79, v55, v56
	v_sub_f16_e32 v80, v57, v58
	;; [unrolled: 3-line block ×3, first 2 shown]
	v_sub_f16_e32 v86, v34, v42
	v_sub_f16_e32 v91, v6, v5
	;; [unrolled: 1-line block ×3, first 2 shown]
	v_add_f16_e32 v106, v55, v57
	v_sub_f16_e32 v107, v40, v33
	v_add_f16_e32 v111, v33, v34
	v_add_f16_e32 v33, v33, v38
	v_fmamk_f16 v123, v109, 0x3b9c, v60
	v_add_f16_e32 v1, v4, v1
	v_add_f16_e32 v4, v19, v44
	v_fmamk_f16 v19, v110, 0xbb9c, v73
	v_fmac_f16_e32 v73, 0x3b9c, v110
	v_fmac_f16_e32 v60, 0xbb9c, v109
	v_fmac_f16_e32 v77, 0x38b4, v114
	v_fmac_f16_e32 v62, 0x38b4, v115
	v_add_f16_e32 v14, v119, v120
	v_sub_f16_e32 v84, v40, v42
	v_add_f16_e32 v100, v5, v7
	s_waitcnt lgkmcnt(0)
	v_add_f16_e32 v112, v5, v13
	v_sub_f16_e32 v118, v5, v7
	v_add_f16_e32 v5, v50, v51
	v_fmamk_f16 v122, v93, 0xbb9c, v46
	v_fmamk_f16 v125, v105, 0x3b9c, v64
	v_fmac_f16_e32 v64, 0xbb9c, v105
	v_fmac_f16_e32 v46, 0x3b9c, v93
	v_add_f16_e32 v36, v36, v41
	v_fmamk_f16 v41, v15, 0x3b9c, v39
	v_add_f16_e32 v44, v79, v80
	v_fmamk_f16 v79, v48, 0xbb9c, v35
	v_fmac_f16_e32 v35, 0x3b9c, v48
	v_fmac_f16_e32 v39, 0xbb9c, v15
	v_fma_f16 v80, -0.5, v43, v13
	v_fma_f16 v43, -0.5, v82, v59
	v_add_f16_e32 v82, v85, v86
	v_add_f16_e32 v86, v91, v94
	v_fma_f16 v91, -0.5, v106, v59
	v_add_f16_e32 v33, v40, v33
	v_fmac_f16_e32 v73, 0xb8b4, v109
	v_fmac_f16_e32 v60, 0xb8b4, v110
	;; [unrolled: 1-line block ×4, first 2 shown]
	v_add_f16_e32 v87, v40, v42
	v_sub_f16_e32 v101, v56, v55
	v_sub_f16_e32 v104, v58, v57
	;; [unrolled: 1-line block ×4, first 2 shown]
	v_add_f16_e32 v6, v6, v112
	v_fma_f16 v103, -0.5, v5, v31
	v_fmac_f16_e32 v122, 0xb8b4, v105
	v_fmac_f16_e32 v125, 0xb8b4, v93
	;; [unrolled: 1-line block ×6, first 2 shown]
	v_add_f16_e32 v4, v20, v4
	v_fmamk_f16 v93, v83, 0x3b9c, v43
	v_fmamk_f16 v105, v84, 0xbb9c, v91
	v_fmac_f16_e32 v91, 0x3b9c, v84
	v_fmac_f16_e32 v43, 0xbb9c, v83
	v_add_f16_e32 v20, v42, v33
	v_fmac_f16_e32 v73, 0x34f2, v14
	v_fmac_f16_e32 v60, 0x34f2, v49
	v_mul_f16_e32 v33, 0x3a79, v62
	v_mul_f16_e32 v40, 0xbb9c, v77
	;; [unrolled: 1-line block ×3, first 2 shown]
	v_add_f16_e32 v63, v116, v117
	v_sub_f16_e32 v88, v55, v57
	v_sub_f16_e32 v90, v56, v58
	;; [unrolled: 1-line block ×4, first 2 shown]
	v_fma_f16 v85, -0.5, v87, v38
	v_fma_f16 v87, -0.5, v100, v13
	v_add_f16_e32 v13, v101, v104
	v_fma_f16 v100, -0.5, v111, v38
	v_fmac_f16_e32 v124, 0xb8b4, v115
	v_fmac_f16_e32 v19, 0x38b4, v109
	v_add_f16_e32 v6, v37, v6
	v_fmac_f16_e32 v46, 0x34f2, v45
	v_fmac_f16_e32 v35, 0x34f2, v16
	;; [unrolled: 1-line block ×10, first 2 shown]
	v_fmamk_f16 v62, v119, 0xbb9c, v103
	v_fmac_f16_e32 v103, 0x3b9c, v119
	v_add_f16_e32 v117, v53, v54
	v_fmac_f16_e32 v79, 0x38b4, v15
	v_add_f16_e32 v15, v102, v18
	v_fmamk_f16 v102, v88, 0xbb9c, v85
	v_fmamk_f16 v106, v90, 0x3b9c, v100
	v_fmac_f16_e32 v100, 0xbb9c, v90
	v_fmac_f16_e32 v85, 0x3b9c, v88
	;; [unrolled: 1-line block ×6, first 2 shown]
	v_add_f16_e32 v61, v7, v6
	v_add_f16_e32 v63, v34, v20
	v_fmac_f16_e32 v93, 0x34f2, v44
	v_fmac_f16_e32 v105, 0x34f2, v13
	;; [unrolled: 1-line block ×4, first 2 shown]
	v_sub_f16_e32 v13, v46, v33
	v_sub_f16_e32 v7, v35, v40
	;; [unrolled: 1-line block ×3, first 2 shown]
	v_add_f16_e32 v34, v46, v33
	v_add_f16_e32 v33, v35, v40
	;; [unrolled: 1-line block ×4, first 2 shown]
	v_fmac_f16_e32 v62, 0x38b4, v118
	v_fmac_f16_e32 v103, 0xb8b4, v118
	v_add_f16_e32 v44, v55, v59
	v_sub_f16_e32 v47, v50, v51
	v_sub_f16_e32 v74, v53, v54
	v_add_f16_e32 v94, v107, v108
	v_fma_f16 v101, -0.5, v117, v31
	v_fmac_f16_e32 v102, 0xb8b4, v90
	v_fmac_f16_e32 v100, 0x38b4, v88
	;; [unrolled: 1-line block ×4, first 2 shown]
	v_add_f16_e32 v31, v31, v50
	v_fmac_f16_e32 v103, 0x34f2, v42
	v_add_f16_e32 v42, v56, v44
	v_fmac_f16_e32 v123, 0x38b4, v110
	v_fmac_f16_e32 v41, 0x38b4, v48
	v_fmamk_f16 v48, v47, 0xbb9c, v80
	v_fmamk_f16 v104, v74, 0x3b9c, v87
	v_fmac_f16_e32 v87, 0xbb9c, v74
	v_fmac_f16_e32 v80, 0x3b9c, v47
	;; [unrolled: 1-line block ×5, first 2 shown]
	v_add_f16_e32 v31, v31, v53
	v_add_f16_e32 v42, v58, v42
	v_sub_f16_e32 v116, v51, v54
	v_fmac_f16_e32 v122, 0x34f2, v45
	v_fmac_f16_e32 v123, 0x34f2, v49
	;; [unrolled: 1-line block ×5, first 2 shown]
	v_mul_f16_e32 v45, 0xba79, v102
	v_mul_f16_e32 v49, 0x34f2, v100
	;; [unrolled: 1-line block ×3, first 2 shown]
	v_add_f16_e32 v31, v31, v54
	v_add_f16_e32 v54, v57, v42
	s_waitcnt vmcnt(2)
	v_mul_f16_sdwa v56, v27, v68 dst_sel:DWORD dst_unused:UNUSED_PAD src0_sel:DWORD src1_sel:WORD_1
	s_waitcnt vmcnt(1)
	v_mul_f16_sdwa v57, v28, v70 dst_sel:DWORD dst_unused:UNUSED_PAD src0_sel:DWORD src1_sel:WORD_1
	v_fmac_f16_e32 v48, 0x34f2, v36
	v_fmac_f16_e32 v87, 0x34f2, v86
	v_fmac_f16_e32 v80, 0x34f2, v36
	v_fmac_f16_e32 v45, 0x38b4, v93
	v_fmac_f16_e32 v49, 0x3b9c, v91
	v_fmac_f16_e32 v60, 0x38b4, v43
	v_fma_f16 v56, v68, v81, -v56
	v_fma_f16 v57, v70, v75, -v57
	v_sub_f16_e32 v113, v50, v53
	v_fmac_f16_e32 v32, 0xb8b4, v114
	v_sub_f16_e32 v38, v61, v63
	v_sub_f16_e32 v36, v48, v45
	;; [unrolled: 1-line block ×4, first 2 shown]
	v_add_f16_e32 v45, v48, v45
	v_add_f16_e32 v48, v87, v49
	;; [unrolled: 1-line block ×4, first 2 shown]
	v_mul_f16_sdwa v58, v30, v66 dst_sel:DWORD dst_unused:UNUSED_PAD src0_sel:DWORD src1_sel:WORD_1
	v_mul_f16_sdwa v60, v97, v66 dst_sel:DWORD dst_unused:UNUSED_PAD src0_sel:DWORD src1_sel:WORD_1
	v_add_f16_e32 v63, v56, v57
	v_fmac_f16_e32 v32, 0x34f2, v76
	v_fmac_f16_e32 v79, 0x34f2, v16
	v_fma_f16 v58, v66, v97, -v58
	v_fmac_f16_e32 v60, v30, v66
	v_fma_f16 v30, -0.5, v63, v52
	v_mul_f16_sdwa v63, v81, v68 dst_sel:DWORD dst_unused:UNUSED_PAD src0_sel:DWORD src1_sel:WORD_1
	v_mul_f16_sdwa v66, v75, v70 dst_sel:DWORD dst_unused:UNUSED_PAD src0_sel:DWORD src1_sel:WORD_1
	v_mul_f16_sdwa v75, v69, v78 dst_sel:DWORD dst_unused:UNUSED_PAD src0_sel:WORD_1 src1_sel:DWORD
	v_fmac_f16_e32 v106, 0xb8b4, v88
	v_mul_f16_e32 v16, 0xb4f2, v32
	v_mul_f16_e32 v20, 0x34f2, v77
	v_mul_f16_e32 v37, 0xb8b4, v124
	v_mul_f16_sdwa v74, v67, v96 dst_sel:DWORD dst_unused:UNUSED_PAD src0_sel:WORD_1 src1_sel:DWORD
	v_fmac_f16_e32 v63, v27, v68
	v_fmac_f16_e32 v66, v28, v70
	s_waitcnt vmcnt(0)
	v_mul_f16_sdwa v27, v99, v89 dst_sel:DWORD dst_unused:UNUSED_PAD src0_sel:WORD_1 src1_sel:DWORD
	v_fmac_f16_e32 v75, v26, v69
	v_mul_f16_sdwa v28, v71, v95 dst_sel:DWORD dst_unused:UNUSED_PAD src0_sel:WORD_1 src1_sel:DWORD
	v_mul_f16_sdwa v26, v26, v69 dst_sel:DWORD dst_unused:UNUSED_PAD src0_sel:DWORD src1_sel:WORD_1
	v_mul_f16_sdwa v68, v23, v71 dst_sel:DWORD dst_unused:UNUSED_PAD src0_sel:DWORD src1_sel:WORD_1
	v_fmamk_f16 v107, v118, 0x3b9c, v101
	v_fmac_f16_e32 v41, 0x34f2, v3
	v_mul_f16_e32 v32, 0xbb9c, v32
	v_fmac_f16_e32 v106, 0x34f2, v94
	v_fmac_f16_e32 v16, 0x3b9c, v19
	;; [unrolled: 1-line block ×7, first 2 shown]
	v_mul_f16_sdwa v70, v65, v98 dst_sel:DWORD dst_unused:UNUSED_PAD src0_sel:WORD_1 src1_sel:DWORD
	v_fmac_f16_e32 v28, v23, v71
	v_fma_f16 v26, v69, v78, -v26
	v_mul_f16_sdwa v23, v25, v65 dst_sel:DWORD dst_unused:UNUSED_PAD src0_sel:DWORD src1_sel:WORD_1
	v_fma_f16 v68, v71, v95, -v68
	v_mul_f16_sdwa v22, v22, v67 dst_sel:DWORD dst_unused:UNUSED_PAD src0_sel:DWORD src1_sel:WORD_1
	v_mul_f16_sdwa v24, v24, v99 dst_sel:DWORD dst_unused:UNUSED_PAD src0_sel:DWORD src1_sel:WORD_1
	v_add_f16_e32 v2, v2, v1
	v_sub_f16_e32 v1, v4, v15
	v_add_f16_e32 v18, v4, v15
	v_fmac_f16_e32 v32, 0xb4f2, v19
	v_sub_f16_e32 v4, v125, v16
	v_sub_f16_e32 v6, v64, v20
	;; [unrolled: 1-line block ×3, first 2 shown]
	v_add_f16_e32 v19, v125, v16
	v_add_f16_e32 v20, v64, v20
	;; [unrolled: 1-line block ×4, first 2 shown]
	v_mul_f16_e32 v64, 0xbb9c, v106
	v_mul_f16_e32 v53, 0xbb9c, v100
	v_fmac_f16_e32 v101, 0xb8b4, v119
	v_mul_f16_e32 v55, 0xb8b4, v85
	v_mul_f16_sdwa v59, v29, v72 dst_sel:DWORD dst_unused:UNUSED_PAD src0_sel:DWORD src1_sel:WORD_1
	v_fmac_f16_e32 v70, v25, v65
	v_fma_f16 v65, v65, v98, -v23
	v_add_f16_e32 v23, v26, v68
	v_add_f16_e32 v25, v75, v28
	v_fma_f16 v67, v67, v96, -v22
	v_fma_f16 v69, v99, v89, -v24
	v_fmac_f16_e32 v104, 0xb8b4, v47
	v_fmac_f16_e32 v107, 0x38b4, v119
	;; [unrolled: 1-line block ×6, first 2 shown]
	v_add_f16_e32 v51, v51, v31
	v_fma_f16 v59, v72, v92, -v59
	v_sub_f16_e32 v22, v74, v75
	v_fma_f16 v71, -0.5, v23, v65
	v_fma_f16 v77, -0.5, v25, v70
	v_sub_f16_e32 v23, v67, v26
	v_sub_f16_e32 v24, v69, v68
	;; [unrolled: 1-line block ×3, first 2 shown]
	v_fmac_f16_e32 v104, 0x34f2, v86
	v_fmac_f16_e32 v107, 0x34f2, v41
	v_sub_f16_e32 v41, v62, v64
	v_sub_f16_e32 v42, v103, v53
	v_sub_f16_e32 v43, v101, v55
	v_sub_f16_e32 v44, v51, v54
	v_mul_f16_sdwa v61, v92, v72 dst_sel:DWORD dst_unused:UNUSED_PAD src0_sel:DWORD src1_sel:WORD_1
	v_add_f16_e32 v83, v23, v24
	v_add_f16_e32 v86, v22, v25
	;; [unrolled: 1-line block ×6, first 2 shown]
	v_sub_f16_e32 v51, v56, v58
	v_sub_f16_e32 v53, v57, v59
	v_add_f16_e32 v54, v67, v69
	v_add_f16_e32 v55, v58, v59
	;; [unrolled: 1-line block ×3, first 2 shown]
	v_fmac_f16_e32 v61, v29, v72
	v_sub_f16_e32 v85, v63, v66
	v_add_f16_e32 v51, v51, v53
	v_fma_f16 v53, -0.5, v54, v65
	v_fma_f16 v54, -0.5, v55, v52
	;; [unrolled: 1-line block ×3, first 2 shown]
	v_sub_f16_e32 v64, v26, v67
	v_sub_f16_e32 v87, v68, v69
	;; [unrolled: 1-line block ×5, first 2 shown]
	v_add_f16_e32 v5, v17, v0
	v_add_f16_e32 v64, v64, v87
	v_fmamk_f16 v87, v85, 0x3b9c, v54
	v_fmac_f16_e32 v54, 0xbb9c, v85
	v_fmamk_f16 v84, v72, 0xbb9c, v30
	v_fmac_f16_e32 v30, 0x3b9c, v72
	v_sub_f16_e32 v76, v74, v27
	v_fmac_f16_e32 v87, 0xb8b4, v72
	v_fmac_f16_e32 v54, 0x38b4, v72
	v_add_f16_e32 v29, v73, v29
	v_fmac_f16_e32 v84, 0xb8b4, v85
	v_fmac_f16_e32 v30, 0x38b4, v85
	;; [unrolled: 1-line block ×4, first 2 shown]
	v_add_f16_e32 v51, v58, v52
	v_add_f16_e32 v52, v67, v65
	v_sub_f16_e32 v0, v5, v2
	v_add_f16_e32 v17, v5, v2
	v_sub_f16_e32 v5, v79, v32
	v_add_f16_e32 v51, v56, v51
	v_add_f16_e32 v32, v79, v32
	v_sub_f16_e32 v78, v67, v69
	v_fmamk_f16 v79, v76, 0xbb9c, v71
	v_sub_f16_e32 v80, v75, v28
	v_sub_f16_e32 v82, v26, v68
	v_fmac_f16_e32 v84, 0x34f2, v29
	v_fmac_f16_e32 v30, 0x34f2, v29
	v_add_f16_e32 v29, v57, v51
	v_add_f16_e32 v26, v26, v52
	v_fmamk_f16 v81, v78, 0x3b9c, v77
	v_fmac_f16_e32 v79, 0xb8b4, v80
	v_sub_f16_e32 v52, v58, v59
	v_add_f16_e32 v58, v59, v29
	v_add_f16_e32 v26, v68, v26
	v_sub_f16_e32 v29, v60, v63
	v_sub_f16_e32 v59, v61, v66
	v_add_f16_e32 v68, v60, v61
	v_fmac_f16_e32 v81, 0x38b4, v82
	v_fmac_f16_e32 v79, 0x34f2, v83
	v_fmamk_f16 v91, v82, 0xbb9c, v55
	v_fmac_f16_e32 v55, 0x3b9c, v82
	v_fmac_f16_e32 v71, 0x3b9c, v76
	v_sub_f16_e32 v56, v56, v57
	v_add_f16_e32 v57, v69, v26
	v_add_f16_e32 v26, v29, v59
	v_fma_f16 v59, -0.5, v68, v21
	v_fmac_f16_e32 v81, 0x34f2, v86
	v_mul_f16_e32 v62, 0xba79, v79
	v_mul_f16_e32 v79, 0xb8b4, v79
	v_fmamk_f16 v88, v80, 0x3b9c, v53
	v_fmac_f16_e32 v53, 0xbb9c, v80
	v_fmac_f16_e32 v91, 0x38b4, v78
	;; [unrolled: 1-line block ×5, first 2 shown]
	v_add_f16_e32 v67, v63, v66
	v_sub_f16_e32 v29, v63, v60
	v_sub_f16_e32 v78, v66, v61
	v_fmamk_f16 v80, v56, 0xbb9c, v59
	v_fmac_f16_e32 v59, 0x3b9c, v56
	v_fmac_f16_e32 v62, 0x38b4, v81
	v_fmac_f16_e32 v79, 0xba79, v81
	v_mul_hi_u32 v81, 0x1b4e81b5, v12
	v_fma_f16 v51, -0.5, v67, v21
	v_add_f16_e32 v29, v29, v78
	v_fmac_f16_e32 v80, 0x38b4, v52
	v_fmac_f16_e32 v59, 0xb8b4, v52
	v_sub_f16_e32 v89, v75, v74
	v_sub_f16_e32 v90, v28, v27
	v_fmac_f16_e32 v53, 0x38b4, v76
	v_fmamk_f16 v67, v52, 0x3b9c, v51
	v_fmac_f16_e32 v80, 0x34f2, v29
	v_fmac_f16_e32 v59, 0x34f2, v29
	v_add_f16_e32 v29, v74, v70
	v_fmac_f16_e32 v51, 0xbb9c, v52
	v_lshrrev_b32_e32 v52, 5, v81
	v_fmac_f16_e32 v88, 0xb8b4, v76
	v_add_f16_e32 v89, v89, v90
	v_fmac_f16_e32 v53, 0x34f2, v64
	v_add_f16_e32 v29, v75, v29
	v_mul_u32_u24_e32 v52, 0x12c, v52
	v_add_f16_e32 v21, v21, v60
	v_fmac_f16_e32 v88, 0x34f2, v64
	v_fmac_f16_e32 v55, 0x34f2, v89
	v_mul_f16_e32 v64, 0x34f2, v53
	v_fmac_f16_e32 v77, 0xb8b4, v82
	v_fmac_f16_e32 v67, 0x38b4, v56
	v_mul_f16_e32 v82, 0xbb9c, v53
	v_fmac_f16_e32 v51, 0xb8b4, v56
	v_add_f16_e32 v28, v28, v29
	v_sub_nc_u32_e32 v60, v12, v52
	v_add_f16_e32 v21, v21, v63
	v_fmac_f16_e32 v64, 0x3b9c, v55
	v_fmac_f16_e32 v67, 0x34f2, v26
	;; [unrolled: 1-line block ×4, first 2 shown]
	v_add_f16_e32 v55, v27, v28
	v_mad_u64_u32 v[26:27], null, s2, v60, 0
	v_add_f16_e32 v21, v21, v66
	v_sub_f16_e32 v72, v54, v64
	v_add_f16_e32 v56, v54, v64
	v_add_nc_u32_e32 v54, 0x12c, v60
	v_fmac_f16_e32 v71, 0x34f2, v83
	v_add_f16_e32 v52, v61, v21
	v_mov_b32_e32 v21, v27
	v_fmac_f16_e32 v77, 0x34f2, v86
	v_sub_f16_e32 v68, v58, v57
	v_mul_f16_e32 v65, 0x3a79, v71
	v_mul_f16_e32 v53, 0xb8b4, v71
	v_mad_u64_u32 v[27:28], null, s3, v60, v[21:22]
	v_mad_u64_u32 v[28:29], null, s2, v54, 0
	v_fmac_f16_e32 v65, 0x38b4, v77
	v_fmac_f16_e32 v53, 0x3a79, v77
	v_sub_f16_e32 v71, v52, v55
	v_add_f16_e32 v57, v58, v57
	v_sub_f16_e32 v61, v67, v79
	v_sub_f16_e32 v69, v30, v65
	v_mov_b32_e32 v21, v29
	v_add_co_u32 v29, vcc_lo, s10, v10
	v_sub_f16_e32 v70, v51, v53
	v_add_f16_e32 v30, v30, v65
	v_add_f16_e32 v65, v51, v53
	v_add_co_ci_u32_e32 v51, vcc_lo, s11, v11, vcc_lo
	v_lshlrev_b64 v[10:11], 2, v[26:27]
	v_mad_u64_u32 v[26:27], null, s3, v54, v[21:22]
	v_add_nc_u32_e32 v54, 0x258, v60
	v_add_co_u32 v8, vcc_lo, v29, v8
	v_add_f16_e32 v53, v52, v55
	v_add_co_ci_u32_e32 v9, vcc_lo, v51, v9, vcc_lo
	v_mad_u64_u32 v[51:52], null, s2, v54, 0
	v_mov_b32_e32 v29, v26
	v_add_nc_u32_e32 v55, 0x384, v60
	v_add_f16_e32 v58, v67, v79
	v_add_nc_u32_e32 v67, 0x4b0, v60
	v_add_co_u32 v10, vcc_lo, v8, v10
	v_mov_b32_e32 v21, v52
	v_lshlrev_b64 v[26:27], 2, v[28:29]
	v_mad_u64_u32 v[28:29], null, s2, v55, 0
	v_pack_b32_f16 v57, v53, v57
	v_mad_u64_u32 v[52:53], null, s3, v54, v[21:22]
	v_mad_u64_u32 v[53:54], null, s2, v67, 0
	v_add_co_ci_u32_e32 v11, vcc_lo, v9, v11, vcc_lo
	v_add_co_u32 v26, vcc_lo, v8, v26
	v_add_co_ci_u32_e32 v27, vcc_lo, v9, v27, vcc_lo
	v_mov_b32_e32 v21, v29
	v_pack_b32_f16 v65, v65, v30
	global_store_dword v[10:11], v57, off
	global_store_dword v[26:27], v65, off
	v_mov_b32_e32 v10, v54
	v_mad_u64_u32 v[29:30], null, s3, v55, v[21:22]
	v_add_nc_u32_e32 v30, 0x5dc, v60
	v_lshlrev_b64 v[26:27], 2, v[51:52]
	v_mad_u64_u32 v[10:11], null, s3, v67, v[10:11]
	v_sub_f16_e32 v66, v59, v82
	v_mad_u64_u32 v[51:52], null, s2, v30, 0
	v_add_f16_e32 v21, v59, v82
	v_add_nc_u32_e32 v59, 0x708, v60
	v_fmac_f16_e32 v91, 0x34f2, v89
	v_mul_f16_e32 v90, 0xb4f2, v88
	v_mul_f16_e32 v78, 0xbb9c, v88
	v_pack_b32_f16 v21, v21, v56
	v_mov_b32_e32 v54, v10
	v_mad_u64_u32 v[55:56], null, s2, v59, 0
	v_lshlrev_b64 v[28:29], 2, v[28:29]
	v_mov_b32_e32 v10, v52
	v_fmac_f16_e32 v90, 0x3b9c, v91
	v_fmac_f16_e32 v78, 0xb4f2, v91
	v_add_co_u32 v26, vcc_lo, v8, v26
	v_lshlrev_b64 v[52:53], 2, v[53:54]
	v_add_co_ci_u32_e32 v27, vcc_lo, v9, v27, vcc_lo
	v_mad_u64_u32 v[10:11], null, s3, v30, v[10:11]
	v_add_co_u32 v28, vcc_lo, v8, v28
	v_mov_b32_e32 v11, v56
	v_add_f16_e32 v74, v87, v90
	v_add_f16_e32 v64, v80, v78
	v_add_co_ci_u32_e32 v29, vcc_lo, v9, v29, vcc_lo
	v_add_co_u32 v56, vcc_lo, v8, v52
	v_sub_f16_e32 v73, v84, v62
	v_add_f16_e32 v62, v84, v62
	v_add_co_ci_u32_e32 v57, vcc_lo, v9, v53, vcc_lo
	v_mad_u64_u32 v[53:54], null, s3, v59, v[11:12]
	v_add_nc_u32_e32 v54, 0x834, v60
	v_pack_b32_f16 v64, v64, v74
	v_pack_b32_f16 v30, v58, v62
	global_store_dword v[26:27], v21, off
	global_store_dword v[28:29], v64, off
	v_mad_u64_u32 v[26:27], null, s2, v54, 0
	v_mov_b32_e32 v52, v10
	global_store_dword v[56:57], v30, off
	v_add_nc_u32_e32 v57, 0x960, v60
	v_add_nc_u32_e32 v58, 0x64, v12
	v_mov_b32_e32 v56, v53
	v_lshlrev_b64 v[10:11], 2, v[51:52]
	v_mov_b32_e32 v21, v27
	v_mad_u64_u32 v[51:52], null, s2, v57, 0
	v_mul_hi_u32 v27, 0x1b4e81b5, v58
	v_add_nc_u32_e32 v59, 0xa8c, v60
	v_mad_u64_u32 v[53:54], null, s3, v54, v[21:22]
	v_lshlrev_b64 v[28:29], 2, v[55:56]
	v_add_co_u32 v10, vcc_lo, v8, v10
	v_mov_b32_e32 v21, v52
	v_lshrrev_b32_e32 v60, 5, v27
	v_mad_u64_u32 v[54:55], null, s2, v59, 0
	v_add_co_ci_u32_e32 v11, vcc_lo, v9, v11, vcc_lo
	v_mad_u64_u32 v[56:57], null, s3, v57, v[21:22]
	v_mul_u32_u24_e32 v21, 0x12c, v60
	v_add_co_u32 v28, vcc_lo, v8, v28
	v_pack_b32_f16 v30, v71, v68
	v_add_co_ci_u32_e32 v29, vcc_lo, v9, v29, vcc_lo
	v_sub_nc_u32_e32 v21, v58, v21
	v_pack_b32_f16 v52, v70, v69
	global_store_dword v[10:11], v30, off
	global_store_dword v[28:29], v52, off
	v_mov_b32_e32 v10, v55
	v_mov_b32_e32 v52, v56
	v_mad_u32_u24 v62, 0xbb8, v60, v21
	v_mov_b32_e32 v27, v53
	v_sub_f16_e32 v76, v87, v90
	v_mad_u64_u32 v[10:11], null, s3, v59, v[10:11]
	v_lshlrev_b64 v[28:29], 2, v[51:52]
	v_mad_u64_u32 v[51:52], null, s2, v62, 0
	v_lshlrev_b64 v[26:27], 2, v[26:27]
	v_add_nc_u32_e32 v64, 0x258, v62
	v_add_nc_u32_e32 v59, 0x12c, v62
	v_mov_b32_e32 v55, v10
	v_sub_f16_e32 v63, v80, v78
	v_pack_b32_f16 v30, v66, v72
	v_mov_b32_e32 v21, v52
	v_add_co_u32 v26, vcc_lo, v8, v26
	v_lshlrev_b64 v[52:53], 2, v[54:55]
	v_add_co_ci_u32_e32 v27, vcc_lo, v9, v27, vcc_lo
	v_mad_u64_u32 v[54:55], null, s3, v62, v[21:22]
	v_mad_u64_u32 v[55:56], null, s2, v64, 0
	v_add_co_u32 v28, vcc_lo, v8, v28
	v_mad_u64_u32 v[10:11], null, s2, v59, 0
	v_add_co_ci_u32_e32 v29, vcc_lo, v9, v29, vcc_lo
	v_add_co_u32 v57, vcc_lo, v8, v52
	v_mov_b32_e32 v52, v54
	v_pack_b32_f16 v63, v63, v76
	v_mov_b32_e32 v21, v56
	global_store_dword v[26:27], v30, off
	global_store_dword v[28:29], v63, off
	v_lshlrev_b64 v[26:27], 2, v[51:52]
	v_add_nc_u32_e32 v52, 0x384, v62
	v_add_co_ci_u32_e32 v58, vcc_lo, v9, v53, vcc_lo
	v_mad_u64_u32 v[59:60], null, s3, v59, v[11:12]
	v_pack_b32_f16 v11, v61, v73
	v_mad_u64_u32 v[28:29], null, s3, v64, v[21:22]
	v_mad_u64_u32 v[29:30], null, s2, v52, 0
	global_store_dword v[57:58], v11, off
	v_add_nc_u32_e32 v58, 0x4b0, v62
	v_mov_b32_e32 v11, v59
	v_pack_b32_f16 v57, v25, v50
	v_mov_b32_e32 v56, v28
	v_pack_b32_f16 v28, v24, v49
	v_mad_u64_u32 v[50:51], null, s2, v58, 0
	v_mov_b32_e32 v21, v30
	v_add_nc_u32_e32 v49, 0x5dc, v62
	v_lshlrev_b64 v[10:11], 2, v[10:11]
	v_add_co_u32 v26, vcc_lo, v8, v26
	v_mad_u64_u32 v[52:53], null, s3, v52, v[21:22]
	v_mad_u64_u32 v[53:54], null, s2, v49, 0
	v_add_co_ci_u32_e32 v27, vcc_lo, v9, v27, vcc_lo
	v_mov_b32_e32 v21, v51
	v_add_co_u32 v10, vcc_lo, v8, v10
	v_add_co_ci_u32_e32 v11, vcc_lo, v9, v11, vcc_lo
	v_lshlrev_b64 v[24:25], 2, v[55:56]
	v_mad_u64_u32 v[55:56], null, s3, v58, v[21:22]
	v_mov_b32_e32 v30, v52
	global_store_dword v[26:27], v57, off
	global_store_dword v[10:11], v28, off
	v_mov_b32_e32 v10, v54
	v_mul_f16_e32 v47, 0xb4f2, v106
	v_add_co_u32 v24, vcc_lo, v8, v24
	v_lshlrev_b64 v[26:27], 2, v[29:30]
	v_mad_u64_u32 v[10:11], null, s3, v49, v[10:11]
	v_add_co_ci_u32_e32 v25, vcc_lo, v9, v25, vcc_lo
	v_pack_b32_f16 v21, v23, v48
	v_mov_b32_e32 v51, v55
	v_add_nc_u32_e32 v29, 0x708, v62
	v_fmac_f16_e32 v47, 0x3b9c, v105
	v_add_nc_u32_e32 v48, 0x834, v62
	v_mul_f16_e32 v46, 0xb8b4, v102
	global_store_dword v[24:25], v21, off
	v_add_co_u32 v23, vcc_lo, v8, v26
	v_lshlrev_b64 v[25:26], 2, v[50:51]
	v_mov_b32_e32 v54, v10
	v_mad_u64_u32 v[10:11], null, s2, v29, 0
	v_sub_f16_e32 v37, v104, v47
	v_add_f16_e32 v47, v104, v47
	v_add_co_ci_u32_e32 v24, vcc_lo, v9, v27, vcc_lo
	v_mad_u64_u32 v[27:28], null, s2, v48, 0
	v_fmac_f16_e32 v46, 0xba79, v93
	v_add_co_u32 v21, vcc_lo, v8, v25
	v_add_nc_u32_e32 v49, 0xc8, v12
	v_pack_b32_f16 v47, v22, v47
	v_add_co_ci_u32_e32 v22, vcc_lo, v9, v26, vcc_lo
	v_lshlrev_b64 v[25:26], 2, v[53:54]
	v_sub_f16_e32 v31, v107, v46
	v_add_f16_e32 v46, v107, v46
	v_mad_u64_u32 v[11:12], null, s3, v29, v[11:12]
	v_add_nc_u32_e32 v50, 0x960, v62
	v_mov_b32_e32 v12, v28
	v_mul_hi_u32 v28, 0x1b4e81b5, v49
	v_add_co_u32 v25, vcc_lo, v8, v25
	v_pack_b32_f16 v46, v46, v45
	v_add_co_ci_u32_e32 v26, vcc_lo, v9, v26, vcc_lo
	v_pack_b32_f16 v38, v44, v38
	v_mad_u64_u32 v[29:30], null, s2, v50, 0
	global_store_dword v[23:24], v47, off
	global_store_dword v[21:22], v46, off
	;; [unrolled: 1-line block ×3, first 2 shown]
	v_lshrrev_b32_e32 v24, 5, v28
	v_mad_u64_u32 v[44:45], null, s3, v48, v[12:13]
	v_add_nc_u32_e32 v38, 0xa8c, v62
	v_pack_b32_f16 v40, v43, v40
	v_mov_b32_e32 v12, v30
	v_mul_u32_u24_e32 v25, 0x12c, v24
	v_lshlrev_b64 v[10:11], 2, v[10:11]
	v_pack_b32_f16 v37, v41, v37
	v_mov_b32_e32 v28, v44
	v_mad_u64_u32 v[21:22], null, s3, v50, v[12:13]
	v_sub_nc_u32_e32 v12, v49, v25
	v_mad_u64_u32 v[22:23], null, s2, v38, 0
	v_add_co_u32 v10, vcc_lo, v8, v10
	v_mad_u32_u24 v43, 0xbb8, v24, v12
	v_mov_b32_e32 v30, v21
	v_lshlrev_b64 v[24:25], 2, v[27:28]
	v_add_co_ci_u32_e32 v11, vcc_lo, v9, v11, vcc_lo
	v_mad_u64_u32 v[26:27], null, s2, v43, 0
	v_mov_b32_e32 v12, v23
	v_lshlrev_b64 v[28:29], 2, v[29:30]
	v_pack_b32_f16 v21, v42, v39
	v_add_co_u32 v24, vcc_lo, v8, v24
	v_mad_u64_u32 v[38:39], null, s3, v38, v[12:13]
	v_mov_b32_e32 v12, v27
	v_add_co_ci_u32_e32 v25, vcc_lo, v9, v25, vcc_lo
	v_add_co_u32 v27, vcc_lo, v8, v28
	v_add_co_ci_u32_e32 v28, vcc_lo, v9, v29, vcc_lo
	v_mad_u64_u32 v[29:30], null, s3, v43, v[12:13]
	v_mov_b32_e32 v23, v38
	v_add_nc_u32_e32 v30, 0x12c, v43
	global_store_dword v[10:11], v40, off
	global_store_dword v[24:25], v21, off
	;; [unrolled: 1-line block ×3, first 2 shown]
	v_add_nc_u32_e32 v37, 0x258, v43
	v_add_nc_u32_e32 v38, 0x384, v43
	v_lshlrev_b64 v[10:11], 2, v[22:23]
	v_mad_u64_u32 v[21:22], null, s2, v30, 0
	v_mad_u64_u32 v[23:24], null, s2, v37, 0
	v_mov_b32_e32 v27, v29
	v_pack_b32_f16 v36, v31, v36
	v_add_co_u32 v10, vcc_lo, v8, v10
	v_mov_b32_e32 v12, v22
	v_lshlrev_b64 v[25:26], 2, v[26:27]
	v_mad_u64_u32 v[27:28], null, s2, v38, 0
	v_mov_b32_e32 v22, v24
	v_mad_u64_u32 v[29:30], null, s3, v30, v[12:13]
	v_add_co_ci_u32_e32 v11, vcc_lo, v9, v11, vcc_lo
	v_mad_u64_u32 v[30:31], null, s3, v37, v[22:23]
	v_mov_b32_e32 v12, v28
	v_pack_b32_f16 v28, v18, v17
	v_add_co_u32 v25, vcc_lo, v8, v25
	v_mov_b32_e32 v22, v29
	v_mad_u64_u32 v[17:18], null, s3, v38, v[12:13]
	v_mov_b32_e32 v24, v30
	v_add_nc_u32_e32 v29, 0x4b0, v43
	v_add_co_ci_u32_e32 v26, vcc_lo, v9, v26, vcc_lo
	global_store_dword v[10:11], v36, off
	v_lshlrev_b64 v[10:11], 2, v[21:22]
	v_lshlrev_b64 v[21:22], 2, v[23:24]
	v_mad_u64_u32 v[23:24], null, s2, v29, 0
	global_store_dword v[25:26], v28, off
	v_mov_b32_e32 v28, v17
	v_add_co_u32 v10, vcc_lo, v8, v10
	v_add_co_ci_u32_e32 v11, vcc_lo, v9, v11, vcc_lo
	v_lshlrev_b64 v[17:18], 2, v[27:28]
	v_mov_b32_e32 v12, v24
	v_add_co_u32 v21, vcc_lo, v8, v21
	v_add_co_ci_u32_e32 v22, vcc_lo, v9, v22, vcc_lo
	v_add_co_u32 v17, vcc_lo, v8, v17
	v_mad_u64_u32 v[24:25], null, s3, v29, v[12:13]
	v_pack_b32_f16 v26, v35, v34
	v_add_co_ci_u32_e32 v18, vcc_lo, v9, v18, vcc_lo
	v_pack_b32_f16 v19, v32, v19
	v_add_nc_u32_e32 v25, 0x5dc, v43
	v_pack_b32_f16 v12, v33, v20
	global_store_dword v[10:11], v26, off
	global_store_dword v[21:22], v12, off
	;; [unrolled: 1-line block ×3, first 2 shown]
	v_mad_u64_u32 v[17:18], null, s2, v25, 0
	v_add_nc_u32_e32 v26, 0x708, v43
	v_add_nc_u32_e32 v27, 0x834, v43
	v_mul_f16_e32 v15, 0xba79, v124
	v_lshlrev_b64 v[10:11], 2, v[23:24]
	v_add_nc_u32_e32 v28, 0x960, v43
	v_mad_u64_u32 v[19:20], null, s2, v26, 0
	v_mov_b32_e32 v12, v18
	v_mad_u64_u32 v[21:22], null, s2, v27, 0
	v_fmac_f16_e32 v15, 0x38b4, v123
	v_add_co_u32 v10, vcc_lo, v8, v10
	v_mad_u64_u32 v[23:24], null, s3, v25, v[12:13]
	v_sub_f16_e32 v2, v122, v15
	v_add_f16_e32 v15, v122, v15
	v_mov_b32_e32 v18, v20
	v_mov_b32_e32 v12, v22
	v_add_co_ci_u32_e32 v11, vcc_lo, v9, v11, vcc_lo
	v_pack_b32_f16 v20, v16, v15
	v_mad_u64_u32 v[15:16], null, s3, v26, v[18:19]
	v_mov_b32_e32 v18, v23
	v_mad_u64_u32 v[22:23], null, s3, v27, v[12:13]
	v_mad_u64_u32 v[24:25], null, s2, v28, 0
	v_add_nc_u32_e32 v23, 0xa8c, v43
	global_store_dword v[10:11], v20, off
	v_mov_b32_e32 v20, v15
	v_lshlrev_b64 v[10:11], 2, v[17:18]
	v_pack_b32_f16 v26, v1, v0
	v_mad_u64_u32 v[15:16], null, s2, v23, 0
	v_mov_b32_e32 v12, v25
	v_lshlrev_b64 v[0:1], 2, v[19:20]
	v_add_co_u32 v10, vcc_lo, v8, v10
	v_add_co_ci_u32_e32 v11, vcc_lo, v9, v11, vcc_lo
	v_mad_u64_u32 v[17:18], null, s3, v28, v[12:13]
	v_mov_b32_e32 v12, v16
	v_lshlrev_b64 v[18:19], 2, v[21:22]
	v_add_co_u32 v0, vcc_lo, v8, v0
	v_add_co_ci_u32_e32 v1, vcc_lo, v9, v1, vcc_lo
	v_mad_u64_u32 v[20:21], null, s3, v23, v[12:13]
	v_mov_b32_e32 v25, v17
	v_pack_b32_f16 v14, v14, v13
	v_add_co_u32 v17, vcc_lo, v8, v18
	v_add_co_ci_u32_e32 v18, vcc_lo, v9, v19, vcc_lo
	v_mov_b32_e32 v16, v20
	v_lshlrev_b64 v[12:13], 2, v[24:25]
	v_pack_b32_f16 v19, v7, v6
	v_pack_b32_f16 v2, v3, v2
	v_lshlrev_b64 v[6:7], 2, v[15:16]
	v_pack_b32_f16 v15, v5, v4
	v_add_co_u32 v12, vcc_lo, v8, v12
	v_add_co_ci_u32_e32 v13, vcc_lo, v9, v13, vcc_lo
	v_add_co_u32 v4, vcc_lo, v8, v6
	v_add_co_ci_u32_e32 v5, vcc_lo, v9, v7, vcc_lo
	global_store_dword v[10:11], v26, off
	global_store_dword v[0:1], v14, off
	;; [unrolled: 1-line block ×5, first 2 shown]
.LBB0_15:
	s_endpgm
	.section	.rodata,"a",@progbits
	.p2align	6, 0x0
	.amdhsa_kernel fft_rtc_back_len3000_factors_10_3_10_10_wgs_100_tpt_100_halfLds_half_op_CI_CI_sbrr_dirReg
		.amdhsa_group_segment_fixed_size 0
		.amdhsa_private_segment_fixed_size 0
		.amdhsa_kernarg_size 104
		.amdhsa_user_sgpr_count 6
		.amdhsa_user_sgpr_private_segment_buffer 1
		.amdhsa_user_sgpr_dispatch_ptr 0
		.amdhsa_user_sgpr_queue_ptr 0
		.amdhsa_user_sgpr_kernarg_segment_ptr 1
		.amdhsa_user_sgpr_dispatch_id 0
		.amdhsa_user_sgpr_flat_scratch_init 0
		.amdhsa_user_sgpr_private_segment_size 0
		.amdhsa_wavefront_size32 1
		.amdhsa_uses_dynamic_stack 0
		.amdhsa_system_sgpr_private_segment_wavefront_offset 0
		.amdhsa_system_sgpr_workgroup_id_x 1
		.amdhsa_system_sgpr_workgroup_id_y 0
		.amdhsa_system_sgpr_workgroup_id_z 0
		.amdhsa_system_sgpr_workgroup_info 0
		.amdhsa_system_vgpr_workitem_id 0
		.amdhsa_next_free_vgpr 126
		.amdhsa_next_free_sgpr 31
		.amdhsa_reserve_vcc 1
		.amdhsa_reserve_flat_scratch 0
		.amdhsa_float_round_mode_32 0
		.amdhsa_float_round_mode_16_64 0
		.amdhsa_float_denorm_mode_32 3
		.amdhsa_float_denorm_mode_16_64 3
		.amdhsa_dx10_clamp 1
		.amdhsa_ieee_mode 1
		.amdhsa_fp16_overflow 0
		.amdhsa_workgroup_processor_mode 1
		.amdhsa_memory_ordered 1
		.amdhsa_forward_progress 0
		.amdhsa_shared_vgpr_count 0
		.amdhsa_exception_fp_ieee_invalid_op 0
		.amdhsa_exception_fp_denorm_src 0
		.amdhsa_exception_fp_ieee_div_zero 0
		.amdhsa_exception_fp_ieee_overflow 0
		.amdhsa_exception_fp_ieee_underflow 0
		.amdhsa_exception_fp_ieee_inexact 0
		.amdhsa_exception_int_div_zero 0
	.end_amdhsa_kernel
	.text
.Lfunc_end0:
	.size	fft_rtc_back_len3000_factors_10_3_10_10_wgs_100_tpt_100_halfLds_half_op_CI_CI_sbrr_dirReg, .Lfunc_end0-fft_rtc_back_len3000_factors_10_3_10_10_wgs_100_tpt_100_halfLds_half_op_CI_CI_sbrr_dirReg
                                        ; -- End function
	.section	.AMDGPU.csdata,"",@progbits
; Kernel info:
; codeLenInByte = 20796
; NumSgprs: 33
; NumVgprs: 126
; ScratchSize: 0
; MemoryBound: 0
; FloatMode: 240
; IeeeMode: 1
; LDSByteSize: 0 bytes/workgroup (compile time only)
; SGPRBlocks: 4
; VGPRBlocks: 15
; NumSGPRsForWavesPerEU: 33
; NumVGPRsForWavesPerEU: 126
; Occupancy: 8
; WaveLimiterHint : 1
; COMPUTE_PGM_RSRC2:SCRATCH_EN: 0
; COMPUTE_PGM_RSRC2:USER_SGPR: 6
; COMPUTE_PGM_RSRC2:TRAP_HANDLER: 0
; COMPUTE_PGM_RSRC2:TGID_X_EN: 1
; COMPUTE_PGM_RSRC2:TGID_Y_EN: 0
; COMPUTE_PGM_RSRC2:TGID_Z_EN: 0
; COMPUTE_PGM_RSRC2:TIDIG_COMP_CNT: 0
	.text
	.p2alignl 6, 3214868480
	.fill 48, 4, 3214868480
	.type	__hip_cuid_9a0a3cb7c60e220e,@object ; @__hip_cuid_9a0a3cb7c60e220e
	.section	.bss,"aw",@nobits
	.globl	__hip_cuid_9a0a3cb7c60e220e
__hip_cuid_9a0a3cb7c60e220e:
	.byte	0                               ; 0x0
	.size	__hip_cuid_9a0a3cb7c60e220e, 1

	.ident	"AMD clang version 19.0.0git (https://github.com/RadeonOpenCompute/llvm-project roc-6.4.0 25133 c7fe45cf4b819c5991fe208aaa96edf142730f1d)"
	.section	".note.GNU-stack","",@progbits
	.addrsig
	.addrsig_sym __hip_cuid_9a0a3cb7c60e220e
	.amdgpu_metadata
---
amdhsa.kernels:
  - .args:
      - .actual_access:  read_only
        .address_space:  global
        .offset:         0
        .size:           8
        .value_kind:     global_buffer
      - .offset:         8
        .size:           8
        .value_kind:     by_value
      - .actual_access:  read_only
        .address_space:  global
        .offset:         16
        .size:           8
        .value_kind:     global_buffer
      - .actual_access:  read_only
        .address_space:  global
        .offset:         24
        .size:           8
        .value_kind:     global_buffer
      - .actual_access:  read_only
        .address_space:  global
        .offset:         32
        .size:           8
        .value_kind:     global_buffer
      - .offset:         40
        .size:           8
        .value_kind:     by_value
      - .actual_access:  read_only
        .address_space:  global
        .offset:         48
        .size:           8
        .value_kind:     global_buffer
      - .actual_access:  read_only
        .address_space:  global
        .offset:         56
        .size:           8
        .value_kind:     global_buffer
      - .offset:         64
        .size:           4
        .value_kind:     by_value
      - .actual_access:  read_only
        .address_space:  global
        .offset:         72
        .size:           8
        .value_kind:     global_buffer
      - .actual_access:  read_only
        .address_space:  global
        .offset:         80
        .size:           8
        .value_kind:     global_buffer
      - .actual_access:  read_only
        .address_space:  global
        .offset:         88
        .size:           8
        .value_kind:     global_buffer
      - .actual_access:  write_only
        .address_space:  global
        .offset:         96
        .size:           8
        .value_kind:     global_buffer
    .group_segment_fixed_size: 0
    .kernarg_segment_align: 8
    .kernarg_segment_size: 104
    .language:       OpenCL C
    .language_version:
      - 2
      - 0
    .max_flat_workgroup_size: 100
    .name:           fft_rtc_back_len3000_factors_10_3_10_10_wgs_100_tpt_100_halfLds_half_op_CI_CI_sbrr_dirReg
    .private_segment_fixed_size: 0
    .sgpr_count:     33
    .sgpr_spill_count: 0
    .symbol:         fft_rtc_back_len3000_factors_10_3_10_10_wgs_100_tpt_100_halfLds_half_op_CI_CI_sbrr_dirReg.kd
    .uniform_work_group_size: 1
    .uses_dynamic_stack: false
    .vgpr_count:     126
    .vgpr_spill_count: 0
    .wavefront_size: 32
    .workgroup_processor_mode: 1
amdhsa.target:   amdgcn-amd-amdhsa--gfx1030
amdhsa.version:
  - 1
  - 2
...

	.end_amdgpu_metadata
